;; amdgpu-corpus repo=ROCm/rocFFT kind=compiled arch=gfx906 opt=O3
	.text
	.amdgcn_target "amdgcn-amd-amdhsa--gfx906"
	.amdhsa_code_object_version 6
	.protected	fft_rtc_back_len1530_factors_17_3_6_5_wgs_102_tpt_102_halfLds_sp_op_CI_CI_unitstride_sbrr_dirReg ; -- Begin function fft_rtc_back_len1530_factors_17_3_6_5_wgs_102_tpt_102_halfLds_sp_op_CI_CI_unitstride_sbrr_dirReg
	.globl	fft_rtc_back_len1530_factors_17_3_6_5_wgs_102_tpt_102_halfLds_sp_op_CI_CI_unitstride_sbrr_dirReg
	.p2align	8
	.type	fft_rtc_back_len1530_factors_17_3_6_5_wgs_102_tpt_102_halfLds_sp_op_CI_CI_unitstride_sbrr_dirReg,@function
fft_rtc_back_len1530_factors_17_3_6_5_wgs_102_tpt_102_halfLds_sp_op_CI_CI_unitstride_sbrr_dirReg: ; @fft_rtc_back_len1530_factors_17_3_6_5_wgs_102_tpt_102_halfLds_sp_op_CI_CI_unitstride_sbrr_dirReg
; %bb.0:
	s_load_dwordx4 s[8:11], s[4:5], 0x58
	s_load_dwordx4 s[12:15], s[4:5], 0x0
	;; [unrolled: 1-line block ×3, first 2 shown]
	v_mul_u32_u24_e32 v1, 0x283, v0
	v_mov_b32_e32 v3, 0
	v_mov_b32_e32 v10, 0
	s_waitcnt lgkmcnt(0)
	v_cmp_lt_u64_e64 s[0:1], s[14:15], 2
	v_add_u32_sdwa v7, s6, v1 dst_sel:DWORD dst_unused:UNUSED_PAD src0_sel:DWORD src1_sel:WORD_1
	v_mov_b32_e32 v8, v3
	s_and_b64 vcc, exec, s[0:1]
	v_mov_b32_e32 v11, 0
	s_cbranch_vccnz .LBB0_8
; %bb.1:
	s_load_dwordx2 s[0:1], s[4:5], 0x10
	s_add_u32 s2, s18, 8
	s_addc_u32 s3, s19, 0
	s_add_u32 s6, s16, 8
	s_addc_u32 s7, s17, 0
	v_mov_b32_e32 v10, 0
	s_waitcnt lgkmcnt(0)
	s_add_u32 s20, s0, 8
	v_mov_b32_e32 v11, 0
	v_mov_b32_e32 v1, v10
	s_addc_u32 s21, s1, 0
	s_mov_b64 s[22:23], 1
	v_mov_b32_e32 v2, v11
.LBB0_2:                                ; =>This Inner Loop Header: Depth=1
	s_load_dwordx2 s[24:25], s[20:21], 0x0
                                        ; implicit-def: $vgpr5_vgpr6
	s_waitcnt lgkmcnt(0)
	v_or_b32_e32 v4, s25, v8
	v_cmp_ne_u64_e32 vcc, 0, v[3:4]
	s_and_saveexec_b64 s[0:1], vcc
	s_xor_b64 s[26:27], exec, s[0:1]
	s_cbranch_execz .LBB0_4
; %bb.3:                                ;   in Loop: Header=BB0_2 Depth=1
	v_cvt_f32_u32_e32 v4, s24
	v_cvt_f32_u32_e32 v5, s25
	s_sub_u32 s0, 0, s24
	s_subb_u32 s1, 0, s25
	v_mac_f32_e32 v4, 0x4f800000, v5
	v_rcp_f32_e32 v4, v4
	v_mul_f32_e32 v4, 0x5f7ffffc, v4
	v_mul_f32_e32 v5, 0x2f800000, v4
	v_trunc_f32_e32 v5, v5
	v_mac_f32_e32 v4, 0xcf800000, v5
	v_cvt_u32_f32_e32 v5, v5
	v_cvt_u32_f32_e32 v4, v4
	v_mul_lo_u32 v6, s0, v5
	v_mul_hi_u32 v9, s0, v4
	v_mul_lo_u32 v13, s1, v4
	v_mul_lo_u32 v12, s0, v4
	v_add_u32_e32 v6, v9, v6
	v_add_u32_e32 v6, v6, v13
	v_mul_hi_u32 v9, v4, v12
	v_mul_lo_u32 v13, v4, v6
	v_mul_hi_u32 v15, v4, v6
	v_mul_hi_u32 v14, v5, v12
	v_mul_lo_u32 v12, v5, v12
	v_mul_hi_u32 v16, v5, v6
	v_add_co_u32_e32 v9, vcc, v9, v13
	v_addc_co_u32_e32 v13, vcc, 0, v15, vcc
	v_mul_lo_u32 v6, v5, v6
	v_add_co_u32_e32 v9, vcc, v9, v12
	v_addc_co_u32_e32 v9, vcc, v13, v14, vcc
	v_addc_co_u32_e32 v12, vcc, 0, v16, vcc
	v_add_co_u32_e32 v6, vcc, v9, v6
	v_addc_co_u32_e32 v9, vcc, 0, v12, vcc
	v_add_co_u32_e32 v4, vcc, v4, v6
	v_addc_co_u32_e32 v5, vcc, v5, v9, vcc
	v_mul_lo_u32 v6, s0, v5
	v_mul_hi_u32 v9, s0, v4
	v_mul_lo_u32 v12, s1, v4
	v_mul_lo_u32 v13, s0, v4
	v_add_u32_e32 v6, v9, v6
	v_add_u32_e32 v6, v6, v12
	v_mul_lo_u32 v14, v4, v6
	v_mul_hi_u32 v15, v4, v13
	v_mul_hi_u32 v16, v4, v6
	v_mul_hi_u32 v12, v5, v13
	v_mul_lo_u32 v13, v5, v13
	v_mul_hi_u32 v9, v5, v6
	v_add_co_u32_e32 v14, vcc, v15, v14
	v_addc_co_u32_e32 v15, vcc, 0, v16, vcc
	v_mul_lo_u32 v6, v5, v6
	v_add_co_u32_e32 v13, vcc, v14, v13
	v_addc_co_u32_e32 v12, vcc, v15, v12, vcc
	v_addc_co_u32_e32 v9, vcc, 0, v9, vcc
	v_add_co_u32_e32 v6, vcc, v12, v6
	v_addc_co_u32_e32 v9, vcc, 0, v9, vcc
	v_add_co_u32_e32 v6, vcc, v4, v6
	v_addc_co_u32_e32 v9, vcc, v5, v9, vcc
	v_mad_u64_u32 v[4:5], s[0:1], v7, v9, 0
	v_mul_hi_u32 v12, v7, v6
	v_add_co_u32_e32 v14, vcc, v12, v4
	v_addc_co_u32_e32 v15, vcc, 0, v5, vcc
	v_mad_u64_u32 v[4:5], s[0:1], v8, v6, 0
	v_mad_u64_u32 v[12:13], s[0:1], v8, v9, 0
	v_add_co_u32_e32 v4, vcc, v14, v4
	v_addc_co_u32_e32 v4, vcc, v15, v5, vcc
	v_addc_co_u32_e32 v5, vcc, 0, v13, vcc
	v_add_co_u32_e32 v9, vcc, v4, v12
	v_addc_co_u32_e32 v6, vcc, 0, v5, vcc
	v_mul_lo_u32 v12, s25, v9
	v_mul_lo_u32 v13, s24, v6
	v_mad_u64_u32 v[4:5], s[0:1], s24, v9, 0
	v_add3_u32 v5, v5, v13, v12
	v_sub_u32_e32 v12, v8, v5
	v_mov_b32_e32 v13, s25
	v_sub_co_u32_e32 v4, vcc, v7, v4
	v_subb_co_u32_e64 v12, s[0:1], v12, v13, vcc
	v_subrev_co_u32_e64 v13, s[0:1], s24, v4
	v_subbrev_co_u32_e64 v12, s[0:1], 0, v12, s[0:1]
	v_cmp_le_u32_e64 s[0:1], s25, v12
	v_cndmask_b32_e64 v14, 0, -1, s[0:1]
	v_cmp_le_u32_e64 s[0:1], s24, v13
	v_cndmask_b32_e64 v13, 0, -1, s[0:1]
	v_cmp_eq_u32_e64 s[0:1], s25, v12
	v_cndmask_b32_e64 v12, v14, v13, s[0:1]
	v_add_co_u32_e64 v13, s[0:1], 2, v9
	v_addc_co_u32_e64 v14, s[0:1], 0, v6, s[0:1]
	v_add_co_u32_e64 v15, s[0:1], 1, v9
	v_addc_co_u32_e64 v16, s[0:1], 0, v6, s[0:1]
	v_subb_co_u32_e32 v5, vcc, v8, v5, vcc
	v_cmp_ne_u32_e64 s[0:1], 0, v12
	v_cmp_le_u32_e32 vcc, s25, v5
	v_cndmask_b32_e64 v12, v16, v14, s[0:1]
	v_cndmask_b32_e64 v14, 0, -1, vcc
	v_cmp_le_u32_e32 vcc, s24, v4
	v_cndmask_b32_e64 v4, 0, -1, vcc
	v_cmp_eq_u32_e32 vcc, s25, v5
	v_cndmask_b32_e32 v4, v14, v4, vcc
	v_cmp_ne_u32_e32 vcc, 0, v4
	v_cndmask_b32_e64 v4, v15, v13, s[0:1]
	v_cndmask_b32_e32 v6, v6, v12, vcc
	v_cndmask_b32_e32 v5, v9, v4, vcc
.LBB0_4:                                ;   in Loop: Header=BB0_2 Depth=1
	s_andn2_saveexec_b64 s[0:1], s[26:27]
	s_cbranch_execz .LBB0_6
; %bb.5:                                ;   in Loop: Header=BB0_2 Depth=1
	v_cvt_f32_u32_e32 v4, s24
	s_sub_i32 s26, 0, s24
	v_rcp_iflag_f32_e32 v4, v4
	v_mul_f32_e32 v4, 0x4f7ffffe, v4
	v_cvt_u32_f32_e32 v4, v4
	v_mul_lo_u32 v5, s26, v4
	v_mul_hi_u32 v5, v4, v5
	v_add_u32_e32 v4, v4, v5
	v_mul_hi_u32 v4, v7, v4
	v_mul_lo_u32 v5, v4, s24
	v_add_u32_e32 v6, 1, v4
	v_sub_u32_e32 v5, v7, v5
	v_subrev_u32_e32 v9, s24, v5
	v_cmp_le_u32_e32 vcc, s24, v5
	v_cndmask_b32_e32 v5, v5, v9, vcc
	v_cndmask_b32_e32 v4, v4, v6, vcc
	v_add_u32_e32 v6, 1, v4
	v_cmp_le_u32_e32 vcc, s24, v5
	v_cndmask_b32_e32 v5, v4, v6, vcc
	v_mov_b32_e32 v6, v3
.LBB0_6:                                ;   in Loop: Header=BB0_2 Depth=1
	s_or_b64 exec, exec, s[0:1]
	v_mul_lo_u32 v4, v6, s24
	v_mul_lo_u32 v9, v5, s25
	v_mad_u64_u32 v[12:13], s[0:1], v5, s24, 0
	s_load_dwordx2 s[0:1], s[6:7], 0x0
	s_load_dwordx2 s[24:25], s[2:3], 0x0
	v_add3_u32 v4, v13, v9, v4
	v_sub_co_u32_e32 v7, vcc, v7, v12
	v_subb_co_u32_e32 v4, vcc, v8, v4, vcc
	s_waitcnt lgkmcnt(0)
	v_mul_lo_u32 v8, s0, v4
	v_mul_lo_u32 v9, s1, v7
	v_mad_u64_u32 v[10:11], s[0:1], s0, v7, v[10:11]
	s_add_u32 s22, s22, 1
	s_addc_u32 s23, s23, 0
	s_add_u32 s2, s2, 8
	v_mul_lo_u32 v4, s24, v4
	v_mul_lo_u32 v12, s25, v7
	v_mad_u64_u32 v[1:2], s[0:1], s24, v7, v[1:2]
	v_add3_u32 v11, v9, v11, v8
	s_addc_u32 s3, s3, 0
	v_mov_b32_e32 v7, s14
	s_add_u32 s6, s6, 8
	v_mov_b32_e32 v8, s15
	s_addc_u32 s7, s7, 0
	v_cmp_ge_u64_e32 vcc, s[22:23], v[7:8]
	s_add_u32 s20, s20, 8
	v_add3_u32 v2, v12, v2, v4
	s_addc_u32 s21, s21, 0
	s_cbranch_vccnz .LBB0_9
; %bb.7:                                ;   in Loop: Header=BB0_2 Depth=1
	v_mov_b32_e32 v8, v6
	v_mov_b32_e32 v7, v5
	s_branch .LBB0_2
.LBB0_8:
	v_mov_b32_e32 v1, v10
	v_mov_b32_e32 v5, v7
	;; [unrolled: 1-line block ×4, first 2 shown]
.LBB0_9:
	s_load_dwordx2 s[0:1], s[4:5], 0x28
	s_mov_b32 s4, 0x2828283
	v_mul_hi_u32 v3, v0, s4
	s_lshl_b64 s[2:3], s[14:15], 3
	s_add_u32 s4, s18, s2
	s_waitcnt lgkmcnt(0)
	v_cmp_gt_u64_e32 vcc, s[0:1], v[5:6]
	v_mul_u32_u24_e32 v3, 0x66, v3
	v_sub_u32_e32 v3, v0, v3
	s_movk_i32 s0, 0x5a
	v_cmp_gt_u32_e64 s[0:1], s0, v3
	s_addc_u32 s5, s19, s3
	s_and_b64 s[14:15], vcc, s[0:1]
	v_mov_b32_e32 v9, 0
	v_mov_b32_e32 v8, 0
                                        ; implicit-def: $vgpr12
                                        ; implicit-def: $vgpr17
                                        ; implicit-def: $vgpr19
                                        ; implicit-def: $vgpr21
                                        ; implicit-def: $vgpr23
                                        ; implicit-def: $vgpr25
                                        ; implicit-def: $vgpr27
                                        ; implicit-def: $vgpr29
                                        ; implicit-def: $vgpr41
                                        ; implicit-def: $vgpr39
                                        ; implicit-def: $vgpr37
                                        ; implicit-def: $vgpr35
                                        ; implicit-def: $vgpr33
                                        ; implicit-def: $vgpr31
                                        ; implicit-def: $vgpr43
                                        ; implicit-def: $vgpr45
	s_and_saveexec_b64 s[6:7], s[14:15]
	s_cbranch_execz .LBB0_11
; %bb.10:
	s_add_u32 s2, s16, s2
	s_addc_u32 s3, s17, s3
	s_load_dwordx2 s[2:3], s[2:3], 0x0
	v_mov_b32_e32 v12, s9
	v_mov_b32_e32 v4, 0
	s_waitcnt lgkmcnt(0)
	v_mul_lo_u32 v0, s3, v5
	v_mul_lo_u32 v9, s2, v6
	v_mad_u64_u32 v[7:8], s[2:3], s2, v5, 0
	v_add3_u32 v8, v8, v9, v0
	v_lshlrev_b64 v[7:8], 3, v[7:8]
	v_add_co_u32_e64 v0, s[2:3], s8, v7
	v_addc_co_u32_e64 v9, s[2:3], v12, v8, s[2:3]
	v_lshlrev_b64 v[7:8], 3, v[10:11]
	v_add_co_u32_e64 v0, s[2:3], v0, v7
	v_addc_co_u32_e64 v9, s[2:3], v9, v8, s[2:3]
	;; [unrolled: 3-line block ×3, first 2 shown]
	s_movk_i32 s2, 0x1000
	v_add_co_u32_e64 v46, s[2:3], s2, v13
	v_addc_co_u32_e64 v47, s[2:3], 0, v14, s[2:3]
	s_movk_i32 s2, 0x2000
	global_load_dwordx2 v[8:9], v[13:14], off
	global_load_dwordx2 v[11:12], v[13:14], off offset:720
	global_load_dwordx2 v[16:17], v[13:14], off offset:1440
	;; [unrolled: 1-line block ×7, first 2 shown]
	v_add_co_u32_e64 v13, s[2:3], s2, v13
	v_addc_co_u32_e64 v14, s[2:3], 0, v14, s[2:3]
	global_load_dwordx2 v[28:29], v[46:47], off offset:1664
	global_load_dwordx2 v[44:45], v[46:47], off offset:2384
	;; [unrolled: 1-line block ×9, first 2 shown]
.LBB0_11:
	s_or_b64 exec, exec, s[6:7]
	s_waitcnt vmcnt(0)
	v_sub_f32_e32 v64, v12, v41
	v_add_f32_e32 v13, v11, v40
	s_mov_b32 s2, 0x3f6eb680
	v_mul_f32_e32 v0, 0xbeb8f4ab, v64
	v_fma_f32 v4, v13, s2, -v0
	s_mov_b32 s3, 0x3f3d2fb0
	v_mul_f32_e32 v51, 0xbf2c7751, v64
	v_add_f32_e32 v7, v8, v4
	v_fma_f32 v4, v13, s3, -v51
	v_sub_f32_e32 v66, v17, v39
	v_add_f32_e32 v10, v8, v4
	v_add_f32_e32 v15, v16, v38
	v_mul_f32_e32 v4, 0xbf2c7751, v66
	v_fma_f32 v14, v15, s3, -v4
	s_mov_b32 s3, 0x3dbcf732
	v_mul_f32_e32 v53, 0xbf7ee86f, v66
	v_add_f32_e32 v7, v7, v14
	v_fma_f32 v14, v15, s3, -v53
	v_sub_f32_e32 v67, v19, v37
	v_add_f32_e32 v10, v10, v14
	s_mov_b32 s6, 0x3ee437d1
	v_add_f32_e32 v48, v18, v36
	v_mul_f32_e32 v14, 0xbf65296c, v67
	v_fma_f32 v46, v48, s6, -v14
	s_mov_b32 s7, 0xbf1a4643
	v_mul_f32_e32 v54, 0xbf4c4adb, v67
	v_add_f32_e32 v7, v7, v46
	v_fma_f32 v46, v48, s7, -v54
	v_sub_f32_e32 v68, v21, v35
	v_add_f32_e32 v10, v10, v46
	v_add_f32_e32 v50, v20, v34
	v_mul_f32_e32 v46, 0xbf7ee86f, v68
	v_fma_f32 v47, v50, s3, -v46
	s_mov_b32 s3, 0xbf7ba420
	v_mul_f32_e32 v57, 0xbe3c28d5, v68
	v_add_f32_e32 v7, v7, v47
	v_fma_f32 v47, v50, s3, -v57
	v_sub_f32_e32 v69, v23, v33
	v_add_f32_e32 v10, v10, v47
	s_mov_b32 s8, 0xbe8c1d8e
	v_add_f32_e32 v56, v22, v32
	v_mul_f32_e32 v47, 0xbf763a35, v69
	v_fma_f32 v49, v56, s8, -v47
	s_mov_b32 s9, 0xbf59a7d5
	v_mul_f32_e32 v60, 0x3f06c442, v69
	v_add_f32_e32 v7, v7, v49
	v_fma_f32 v49, v56, s9, -v60
	v_sub_f32_e32 v70, v25, v31
	v_add_f32_e32 v10, v10, v49
	v_add_f32_e32 v58, v24, v30
	v_mul_f32_e32 v49, 0xbf4c4adb, v70
	v_fma_f32 v52, v58, s7, -v49
	v_mul_f32_e32 v59, 0x3f763a35, v70
	v_add_f32_e32 v7, v7, v52
	v_fma_f32 v52, v58, s8, -v59
	v_sub_f32_e32 v71, v27, v43
	v_add_f32_e32 v10, v10, v52
	v_add_f32_e32 v61, v26, v42
	v_mul_f32_e32 v52, 0xbf06c442, v71
	v_fma_f32 v55, v61, s9, -v52
	;; [unrolled: 8-line block ×3, first 2 shown]
	v_add_f32_e32 v7, v7, v65
	v_mul_f32_e32 v65, 0x3eb8f4ab, v72
	v_fma_f32 v73, v63, s2, -v65
	v_add_f32_e32 v10, v10, v73
	s_and_saveexec_b64 s[2:3], s[0:1]
	s_cbranch_execz .LBB0_13
; %bb.12:
	v_mul_f32_e32 v73, 0xbf7ba420, v13
	v_mov_b32_e32 v74, v73
	v_mul_f32_e32 v75, 0x3f6eb680, v15
	v_fmac_f32_e32 v74, 0x3e3c28d5, v64
	v_mov_b32_e32 v76, v75
	v_add_f32_e32 v74, v8, v74
	v_fmac_f32_e32 v76, 0xbeb8f4ab, v66
	v_add_f32_e32 v74, v74, v76
	v_mul_f32_e32 v76, 0xbf59a7d5, v48
	v_mov_b32_e32 v77, v76
	v_fmac_f32_e32 v77, 0x3f06c442, v67
	v_add_f32_e32 v74, v74, v77
	v_mul_f32_e32 v77, 0x3f3d2fb0, v50
	v_fmac_f32_e32 v73, 0xbe3c28d5, v64
	v_mov_b32_e32 v78, v77
	v_add_f32_e32 v73, v8, v73
	v_fmac_f32_e32 v75, 0x3eb8f4ab, v66
	v_fmac_f32_e32 v78, 0xbf2c7751, v68
	v_add_f32_e32 v73, v73, v75
	v_fmac_f32_e32 v76, 0xbf06c442, v67
	v_add_f32_e32 v74, v74, v78
	v_mul_f32_e32 v78, 0xbf1a4643, v56
	v_add_f32_e32 v73, v73, v76
	v_fmac_f32_e32 v77, 0x3f2c7751, v68
	v_mul_f32_e32 v75, 0xbf59a7d5, v13
	v_mov_b32_e32 v79, v78
	v_add_f32_e32 v73, v73, v77
	v_fmac_f32_e32 v78, 0xbf4c4adb, v69
	v_mov_b32_e32 v76, v75
	v_mul_f32_e32 v77, 0x3ee437d1, v15
	v_fmac_f32_e32 v79, 0x3f4c4adb, v69
	v_add_f32_e32 v73, v73, v78
	v_fmac_f32_e32 v76, 0x3f06c442, v64
	v_mov_b32_e32 v78, v77
	v_add_f32_e32 v74, v74, v79
	v_mul_f32_e32 v79, 0x3ee437d1, v58
	v_add_f32_e32 v76, v8, v76
	v_fmac_f32_e32 v78, 0xbf65296c, v66
	v_mov_b32_e32 v80, v79
	v_fmac_f32_e32 v79, 0x3f65296c, v70
	v_add_f32_e32 v76, v76, v78
	v_mul_f32_e32 v78, 0x3dbcf732, v48
	v_fmac_f32_e32 v80, 0xbf65296c, v70
	v_add_f32_e32 v73, v73, v79
	v_mov_b32_e32 v79, v78
	v_add_f32_e32 v74, v74, v80
	v_mul_f32_e32 v80, 0xbe8c1d8e, v61
	v_fmac_f32_e32 v79, 0x3f7ee86f, v67
	v_mov_b32_e32 v81, v80
	v_fmac_f32_e32 v80, 0xbf763a35, v71
	v_add_f32_e32 v76, v76, v79
	v_mul_f32_e32 v79, 0xbf1a4643, v50
	v_fmac_f32_e32 v75, 0xbf06c442, v64
	v_fmac_f32_e32 v81, 0x3f763a35, v71
	v_add_f32_e32 v73, v73, v80
	v_mov_b32_e32 v80, v79
	v_add_f32_e32 v75, v8, v75
	v_fmac_f32_e32 v77, 0x3f65296c, v66
	v_add_f32_e32 v74, v74, v81
	v_mul_f32_e32 v81, 0x3dbcf732, v63
	v_fmac_f32_e32 v80, 0xbf4c4adb, v68
	v_add_f32_e32 v75, v75, v77
	v_fmac_f32_e32 v78, 0xbf7ee86f, v67
	v_mov_b32_e32 v82, v81
	v_fmac_f32_e32 v81, 0x3f7ee86f, v72
	v_add_f32_e32 v76, v76, v80
	v_mul_f32_e32 v80, 0x3f6eb680, v56
	v_add_f32_e32 v75, v75, v78
	v_fmac_f32_e32 v79, 0x3f4c4adb, v68
	v_mul_f32_e32 v77, 0xbf1a4643, v13
	v_add_f32_e32 v73, v73, v81
	v_mov_b32_e32 v81, v80
	v_add_f32_e32 v75, v75, v79
	v_fmac_f32_e32 v80, 0xbeb8f4ab, v69
	v_mov_b32_e32 v78, v77
	v_mul_f32_e32 v79, 0xbe8c1d8e, v15
	v_fmac_f32_e32 v81, 0x3eb8f4ab, v69
	v_add_f32_e32 v75, v75, v80
	v_fmac_f32_e32 v78, 0x3f4c4adb, v64
	v_mov_b32_e32 v80, v79
	v_fmac_f32_e32 v82, 0xbf7ee86f, v72
	v_add_f32_e32 v76, v76, v81
	v_mul_f32_e32 v81, 0xbf7ba420, v58
	v_add_f32_e32 v78, v8, v78
	v_fmac_f32_e32 v80, 0xbf763a35, v66
	v_add_f32_e32 v74, v74, v82
	v_mov_b32_e32 v82, v81
	v_fmac_f32_e32 v81, 0xbe3c28d5, v70
	v_add_f32_e32 v78, v78, v80
	v_mul_f32_e32 v80, 0x3f6eb680, v48
	v_fmac_f32_e32 v82, 0x3e3c28d5, v70
	v_add_f32_e32 v75, v75, v81
	v_mov_b32_e32 v81, v80
	v_add_f32_e32 v76, v76, v82
	v_mul_f32_e32 v82, 0x3f3d2fb0, v61
	v_fmac_f32_e32 v81, 0x3eb8f4ab, v67
	v_mov_b32_e32 v83, v82
	v_fmac_f32_e32 v82, 0x3f2c7751, v71
	v_add_f32_e32 v78, v78, v81
	v_mul_f32_e32 v81, 0xbf59a7d5, v50
	v_fmac_f32_e32 v77, 0xbf4c4adb, v64
	v_fmac_f32_e32 v83, 0xbf2c7751, v71
	v_add_f32_e32 v75, v75, v82
	v_mov_b32_e32 v82, v81
	v_add_f32_e32 v77, v8, v77
	v_fmac_f32_e32 v79, 0x3f763a35, v66
	v_add_f32_e32 v76, v76, v83
	v_mul_f32_e32 v83, 0xbe8c1d8e, v63
	v_fmac_f32_e32 v82, 0x3f06c442, v68
	v_add_f32_e32 v77, v77, v79
	v_fmac_f32_e32 v80, 0xbeb8f4ab, v67
	v_mov_b32_e32 v84, v83
	v_fmac_f32_e32 v83, 0xbf763a35, v72
	v_add_f32_e32 v78, v78, v82
	v_mul_f32_e32 v82, 0x3dbcf732, v56
	v_add_f32_e32 v77, v77, v80
	v_fmac_f32_e32 v81, 0xbf06c442, v68
	v_mul_f32_e32 v79, 0xbe8c1d8e, v13
	v_add_f32_e32 v75, v75, v83
	v_mov_b32_e32 v83, v82
	v_add_f32_e32 v77, v77, v81
	v_fmac_f32_e32 v82, 0x3f7ee86f, v69
	v_mov_b32_e32 v80, v79
	v_mul_f32_e32 v81, 0xbf59a7d5, v15
	v_fmac_f32_e32 v83, 0xbf7ee86f, v69
	v_add_f32_e32 v77, v77, v82
	v_fmac_f32_e32 v80, 0x3f763a35, v64
	v_mov_b32_e32 v82, v81
	v_fmac_f32_e32 v84, 0x3f763a35, v72
	v_add_f32_e32 v78, v78, v83
	v_mul_f32_e32 v83, 0x3f3d2fb0, v58
	v_add_f32_e32 v80, v8, v80
	v_fmac_f32_e32 v82, 0xbf06c442, v66
	v_add_f32_e32 v76, v76, v84
	;; [unrolled: 48-line block ×3, first 2 shown]
	v_mov_b32_e32 v86, v85
	v_fmac_f32_e32 v85, 0x3f7ee86f, v70
	v_add_f32_e32 v82, v82, v84
	v_mul_f32_e32 v84, 0xbe8c1d8e, v48
	v_fmac_f32_e32 v86, 0xbf7ee86f, v70
	v_add_f32_e32 v79, v79, v85
	v_mov_b32_e32 v85, v84
	v_add_f32_e32 v80, v80, v86
	v_mul_f32_e32 v86, 0x3f6eb680, v61
	v_fmac_f32_e32 v85, 0xbf763a35, v67
	v_mov_b32_e32 v87, v86
	v_fmac_f32_e32 v86, 0xbeb8f4ab, v71
	v_add_f32_e32 v82, v82, v85
	v_mul_f32_e32 v85, 0x3f6eb680, v50
	v_fmac_f32_e32 v81, 0xbf7ee86f, v64
	v_fmac_f32_e32 v87, 0x3eb8f4ab, v71
	v_add_f32_e32 v79, v79, v86
	v_mov_b32_e32 v86, v85
	v_add_f32_e32 v81, v8, v81
	v_fmac_f32_e32 v83, 0xbe3c28d5, v66
	v_add_f32_e32 v80, v80, v87
	v_mul_f32_e32 v87, 0xbf1a4643, v63
	v_fmac_f32_e32 v86, 0xbeb8f4ab, v68
	v_add_f32_e32 v81, v81, v83
	v_fmac_f32_e32 v84, 0x3f763a35, v67
	v_mov_b32_e32 v88, v87
	v_fmac_f32_e32 v87, 0xbf4c4adb, v72
	v_add_f32_e32 v82, v82, v86
	v_mul_f32_e32 v86, 0x3ee437d1, v56
	v_add_f32_e32 v81, v81, v84
	v_fmac_f32_e32 v85, 0x3eb8f4ab, v68
	v_add_f32_e32 v79, v79, v87
	v_mov_b32_e32 v87, v86
	v_add_f32_e32 v81, v81, v85
	v_fmac_f32_e32 v86, 0xbf65296c, v69
	v_mul_f32_e32 v85, 0xbf1a4643, v15
	v_add_f32_e32 v81, v81, v86
	v_mul_f32_e32 v83, 0x3ee437d1, v13
	v_mov_b32_e32 v86, v85
	v_mov_b32_e32 v84, v83
	v_fmac_f32_e32 v86, 0x3f4c4adb, v66
	v_fmac_f32_e32 v85, 0xbf4c4adb, v66
	v_mul_f32_e32 v66, 0x3f3d2fb0, v13
	v_fmac_f32_e32 v87, 0x3f65296c, v69
	v_fmac_f32_e32 v84, 0x3f65296c, v64
	v_add_f32_e32 v51, v51, v66
	v_mul_f32_e32 v66, 0x3dbcf732, v15
	v_fmac_f32_e32 v88, 0x3f4c4adb, v72
	v_add_f32_e32 v82, v82, v87
	v_mul_f32_e32 v87, 0xbf59a7d5, v58
	v_add_f32_e32 v84, v8, v84
	v_add_f32_e32 v53, v53, v66
	;; [unrolled: 1-line block ×4, first 2 shown]
	v_mov_b32_e32 v88, v87
	v_fmac_f32_e32 v87, 0xbf06c442, v70
	v_add_f32_e32 v84, v84, v86
	v_mul_f32_e32 v86, 0xbf7ba420, v48
	v_add_f32_e32 v51, v51, v53
	v_mul_f32_e32 v53, 0xbf1a4643, v48
	v_fmac_f32_e32 v88, 0x3f06c442, v70
	v_add_f32_e32 v81, v81, v87
	v_mov_b32_e32 v87, v86
	v_add_f32_e32 v53, v54, v53
	v_mul_f32_e32 v13, 0x3f6eb680, v13
	v_add_f32_e32 v82, v82, v88
	v_mul_f32_e32 v88, 0xbf1a4643, v61
	v_fmac_f32_e32 v87, 0xbe3c28d5, v67
	v_add_f32_e32 v51, v51, v53
	v_mul_f32_e32 v53, 0xbf7ba420, v50
	v_mul_f32_e32 v15, 0x3f3d2fb0, v15
	v_add_f32_e32 v0, v0, v13
	v_mov_b32_e32 v89, v88
	v_fmac_f32_e32 v88, 0x3f4c4adb, v71
	v_add_f32_e32 v84, v84, v87
	v_mul_f32_e32 v87, 0xbe8c1d8e, v50
	v_add_f32_e32 v53, v57, v53
	v_mul_f32_e32 v48, 0x3ee437d1, v48
	v_add_f32_e32 v0, v8, v0
	v_add_f32_e32 v4, v4, v15
	;; [unrolled: 1-line block ×3, first 2 shown]
	v_mov_b32_e32 v88, v87
	v_add_f32_e32 v51, v51, v53
	v_mul_f32_e32 v53, 0xbf59a7d5, v56
	v_mul_f32_e32 v50, 0x3dbcf732, v50
	v_add_f32_e32 v0, v0, v4
	v_add_f32_e32 v4, v14, v48
	v_fmac_f32_e32 v88, 0xbf763a35, v68
	v_add_f32_e32 v53, v60, v53
	v_mul_f32_e32 v54, 0xbe8c1d8e, v56
	v_add_f32_e32 v0, v0, v4
	v_add_f32_e32 v4, v46, v50
	;; [unrolled: 1-line block ×3, first 2 shown]
	v_mul_f32_e32 v88, 0x3f3d2fb0, v56
	v_add_f32_e32 v51, v51, v53
	v_mul_f32_e32 v53, 0xbf1a4643, v58
	v_mul_f32_e32 v56, 0xbe8c1d8e, v58
	v_add_f32_e32 v0, v0, v4
	v_add_f32_e32 v4, v47, v54
	v_add_f32_e32 v56, v59, v56
	v_mul_f32_e32 v57, 0xbf59a7d5, v61
	v_add_f32_e32 v0, v0, v4
	v_add_f32_e32 v4, v49, v53
	v_add_f32_e32 v51, v51, v56
	;; [unrolled: 4-line block ×3, first 2 shown]
	v_add_f32_e32 v4, v55, v56
	v_add_f32_e32 v0, v0, v4
	;; [unrolled: 1-line block ×4, first 2 shown]
	v_fmac_f32_e32 v89, 0xbf4c4adb, v71
	v_add_f32_e32 v4, v4, v18
	v_add_f32_e32 v82, v82, v89
	v_mul_f32_e32 v89, 0x3f3d2fb0, v63
	v_add_f32_e32 v4, v4, v20
	v_mov_b32_e32 v90, v89
	v_fmac_f32_e32 v89, 0x3f2c7751, v72
	v_add_f32_e32 v4, v4, v22
	v_add_f32_e32 v81, v81, v89
	v_mov_b32_e32 v89, v88
	v_add_f32_e32 v4, v4, v24
	v_fmac_f32_e32 v89, 0xbf2c7751, v69
	v_add_f32_e32 v4, v4, v26
	v_fmac_f32_e32 v90, 0xbf2c7751, v72
	v_add_f32_e32 v84, v84, v89
	v_mul_f32_e32 v89, 0x3f6eb680, v58
	v_add_f32_e32 v4, v4, v28
	v_add_f32_e32 v82, v82, v90
	v_mov_b32_e32 v90, v89
	v_fmac_f32_e32 v83, 0xbf65296c, v64
	v_add_f32_e32 v4, v4, v44
	v_fmac_f32_e32 v90, 0x3eb8f4ab, v70
	v_add_f32_e32 v64, v8, v83
	v_add_f32_e32 v4, v42, v4
	;; [unrolled: 1-line block ×3, first 2 shown]
	v_mul_f32_e32 v90, 0x3dbcf732, v61
	v_add_f32_e32 v64, v64, v85
	v_fmac_f32_e32 v86, 0x3e3c28d5, v67
	v_add_f32_e32 v4, v30, v4
	v_mov_b32_e32 v91, v90
	v_add_f32_e32 v64, v64, v86
	v_fmac_f32_e32 v87, 0x3f763a35, v68
	v_add_f32_e32 v4, v32, v4
	v_fmac_f32_e32 v91, 0x3f7ee86f, v71
	;; [unrolled: 2-line block ×3, first 2 shown]
	v_add_f32_e32 v4, v34, v4
	v_add_f32_e32 v84, v84, v91
	v_mul_f32_e32 v91, 0xbf59a7d5, v63
	v_add_f32_e32 v64, v64, v88
	v_fmac_f32_e32 v89, 0xbeb8f4ab, v70
	v_mul_f32_e32 v58, 0x3ee437d1, v61
	v_add_f32_e32 v4, v36, v4
	v_mov_b32_e32 v92, v91
	v_add_f32_e32 v64, v64, v89
	v_fmac_f32_e32 v90, 0xbf7ee86f, v71
	v_mul_f32_e32 v59, 0x3f6eb680, v63
	v_add_f32_e32 v58, v62, v58
	v_add_f32_e32 v4, v38, v4
	s_movk_i32 s6, 0x44
	v_fmac_f32_e32 v92, 0x3f06c442, v72
	v_add_f32_e32 v64, v64, v90
	v_fmac_f32_e32 v91, 0xbf06c442, v72
	v_add_f32_e32 v51, v51, v58
	v_add_f32_e32 v58, v65, v59
	v_add_f32_e32 v4, v40, v4
	v_mad_u32_u24 v8, v3, s6, 0
	v_add_f32_e32 v84, v84, v92
	v_add_f32_e32 v64, v64, v91
	;; [unrolled: 1-line block ×3, first 2 shown]
	ds_write2_b32 v8, v4, v0 offset1:1
	ds_write2_b32 v8, v51, v64 offset0:2 offset1:3
	ds_write2_b32 v8, v81, v79 offset0:4 offset1:5
	;; [unrolled: 1-line block ×7, first 2 shown]
	ds_write_b32 v8, v7 offset:64
.LBB0_13:
	s_or_b64 exec, exec, s[2:3]
	v_sub_f32_e32 v76, v11, v40
	v_mul_f32_e32 v79, 0xbeb8f4ab, v76
	v_sub_f32_e32 v72, v16, v38
	v_add_f32_e32 v75, v12, v41
	v_mov_b32_e32 v0, v79
	v_mul_f32_e32 v77, 0xbf2c7751, v72
	v_fmac_f32_e32 v0, 0x3f6eb680, v75
	v_mul_f32_e32 v80, 0xbf2c7751, v76
	v_add_f32_e32 v71, v17, v39
	v_mov_b32_e32 v8, v77
	v_add_f32_e32 v0, v9, v0
	v_mov_b32_e32 v4, v80
	v_fmac_f32_e32 v8, 0x3f3d2fb0, v71
	v_mul_f32_e32 v78, 0xbf7ee86f, v72
	v_fmac_f32_e32 v4, 0x3f3d2fb0, v75
	v_add_f32_e32 v0, v0, v8
	v_mov_b32_e32 v8, v78
	v_sub_f32_e32 v68, v18, v36
	v_add_f32_e32 v4, v9, v4
	v_fmac_f32_e32 v8, 0x3dbcf732, v71
	v_mul_f32_e32 v73, 0xbf65296c, v68
	v_add_f32_e32 v4, v4, v8
	v_add_f32_e32 v67, v19, v37
	v_mov_b32_e32 v8, v73
	v_fmac_f32_e32 v8, 0x3ee437d1, v67
	v_mul_f32_e32 v74, 0xbf4c4adb, v68
	v_add_f32_e32 v0, v0, v8
	v_mov_b32_e32 v8, v74
	v_sub_f32_e32 v64, v20, v34
	v_fmac_f32_e32 v8, 0xbf1a4643, v67
	v_mul_f32_e32 v69, 0xbf7ee86f, v64
	v_add_f32_e32 v4, v4, v8
	v_add_f32_e32 v63, v21, v35
	v_mov_b32_e32 v8, v69
	v_fmac_f32_e32 v8, 0x3dbcf732, v63
	v_mul_f32_e32 v70, 0xbe3c28d5, v64
	v_add_f32_e32 v0, v0, v8
	v_mov_b32_e32 v8, v70
	v_sub_f32_e32 v60, v22, v32
	;; [unrolled: 10-line block ×5, first 2 shown]
	v_fmac_f32_e32 v8, 0x3ee437d1, v30
	v_mul_f32_e32 v34, 0xbe3c28d5, v13
	v_add_f32_e32 v14, v4, v8
	v_add_f32_e32 v4, v29, v45
	v_mov_b32_e32 v8, v34
	v_fmac_f32_e32 v8, 0xbf7ba420, v4
	v_add_f32_e32 v11, v0, v8
	v_lshl_add_u32 v0, v3, 2, 0
	v_add_u32_e32 v18, 0x400, v0
	v_add_u32_e32 v8, 0xe00, v0
	;; [unrolled: 1-line block ×6, first 2 shown]
	s_waitcnt lgkmcnt(0)
	s_barrier
	ds_read2_b32 v[48:49], v0 offset1:102
	ds_read2_b32 v[15:16], v18 offset0:152 offset1:254
	ds_read2_b32 v[56:57], v8 offset0:124 offset1:226
	;; [unrolled: 1-line block ×6, first 2 shown]
	ds_read_b32 v24, v0 offset:5712
	v_mul_f32_e32 v36, 0x3eb8f4ab, v13
	v_mov_b32_e32 v44, v36
	v_fmac_f32_e32 v44, 0x3f6eb680, v4
	v_add_f32_e32 v14, v14, v44
	s_waitcnt lgkmcnt(0)
	s_barrier
	s_and_saveexec_b64 s[2:3], s[0:1]
	s_cbranch_execz .LBB0_15
; %bb.14:
	v_add_f32_e32 v12, v9, v12
	v_add_f32_e32 v12, v12, v17
	;; [unrolled: 1-line block ×15, first 2 shown]
	v_mul_f32_e32 v44, 0x3f6eb680, v75
	v_mul_f32_e32 v81, 0x3f3d2fb0, v75
	v_add_f32_e32 v12, v41, v12
	v_mul_f32_e32 v21, 0xbf65296c, v76
	s_mov_b32 s1, 0x3ee437d1
	v_mul_f32_e32 v25, 0xbf7ee86f, v76
	s_mov_b32 s0, 0x3dbcf732
	;; [unrolled: 2-line block ×3, first 2 shown]
	v_mul_f32_e32 v33, 0xbf4c4adb, v76
	v_mul_f32_e32 v37, 0xbf06c442, v76
	s_mov_b32 s8, 0xbf59a7d5
	v_mul_f32_e32 v41, 0xbe3c28d5, v76
	s_mov_b32 s9, 0xbf7ba420
	v_mul_f32_e32 v82, 0x3f3d2fb0, v71
	v_sub_f32_e32 v17, v44, v79
	v_sub_f32_e32 v19, v81, v80
	v_fma_f32 v23, v75, s1, -v21
	v_fmac_f32_e32 v21, 0x3ee437d1, v75
	v_fma_f32 v27, v75, s0, -v25
	v_fmac_f32_e32 v25, 0x3dbcf732, v75
	;; [unrolled: 2-line block ×6, first 2 shown]
	v_mul_f32_e32 v83, 0x3dbcf732, v71
	v_add_f32_e32 v17, v9, v17
	v_add_f32_e32 v19, v9, v19
	;; [unrolled: 1-line block ×14, first 2 shown]
	v_sub_f32_e32 v41, v82, v77
	v_add_f32_e32 v17, v17, v41
	v_sub_f32_e32 v41, v83, v78
	v_add_f32_e32 v19, v19, v41
	v_mul_f32_e32 v41, 0xbf4c4adb, v72
	v_fma_f32 v44, v71, s7, -v41
	v_fmac_f32_e32 v41, 0xbf1a4643, v71
	v_add_f32_e32 v21, v21, v41
	v_mul_f32_e32 v41, 0xbe3c28d5, v72
	v_add_f32_e32 v23, v23, v44
	v_fma_f32 v44, v71, s9, -v41
	v_fmac_f32_e32 v41, 0xbf7ba420, v71
	v_add_f32_e32 v25, v25, v41
	v_mul_f32_e32 v41, 0x3f06c442, v72
	v_add_f32_e32 v27, v27, v44
	;; [unrolled: 5-line block ×4, first 2 shown]
	v_fma_f32 v44, v71, s1, -v41
	v_fmac_f32_e32 v41, 0x3ee437d1, v71
	v_add_f32_e32 v37, v37, v41
	v_mul_f32_e32 v41, 0x3eb8f4ab, v72
	s_mov_b32 s15, 0x3f6eb680
	v_mul_f32_e32 v84, 0x3ee437d1, v67
	v_add_f32_e32 v39, v39, v44
	v_fma_f32 v44, v71, s15, -v41
	v_fmac_f32_e32 v41, 0x3f6eb680, v71
	v_mul_f32_e32 v85, 0xbf1a4643, v67
	v_add_f32_e32 v9, v9, v41
	v_sub_f32_e32 v41, v84, v73
	v_add_f32_e32 v17, v17, v41
	v_sub_f32_e32 v41, v85, v74
	v_add_f32_e32 v19, v19, v41
	v_mul_f32_e32 v41, 0x3e3c28d5, v68
	v_add_f32_e32 v43, v43, v44
	v_fma_f32 v44, v67, s9, -v41
	v_fmac_f32_e32 v41, 0xbf7ba420, v67
	v_add_f32_e32 v21, v21, v41
	v_mul_f32_e32 v41, 0x3f763a35, v68
	v_add_f32_e32 v23, v23, v44
	v_fma_f32 v44, v67, s6, -v41
	v_fmac_f32_e32 v41, 0xbe8c1d8e, v67
	v_add_f32_e32 v25, v25, v41
	v_mul_f32_e32 v41, 0x3f2c7751, v68
	s_mov_b32 s14, 0x3f3d2fb0
	v_add_f32_e32 v27, v27, v44
	v_fma_f32 v44, v67, s14, -v41
	v_fmac_f32_e32 v41, 0x3f3d2fb0, v67
	v_add_f32_e32 v29, v29, v41
	v_mul_f32_e32 v41, 0xbeb8f4ab, v68
	v_add_f32_e32 v31, v31, v44
	v_fma_f32 v44, v67, s15, -v41
	v_fmac_f32_e32 v41, 0x3f6eb680, v67
	v_add_f32_e32 v33, v33, v41
	v_mul_f32_e32 v41, 0xbf7ee86f, v68
	v_add_f32_e32 v35, v35, v44
	v_fma_f32 v44, v67, s0, -v41
	v_fmac_f32_e32 v41, 0x3dbcf732, v67
	v_add_f32_e32 v37, v37, v41
	v_mul_f32_e32 v41, 0xbf06c442, v68
	v_mul_f32_e32 v86, 0x3dbcf732, v63
	v_add_f32_e32 v39, v39, v44
	v_fma_f32 v44, v67, s8, -v41
	v_fmac_f32_e32 v41, 0xbf59a7d5, v67
	v_mul_f32_e32 v87, 0xbf7ba420, v63
	v_add_f32_e32 v9, v9, v41
	v_sub_f32_e32 v41, v86, v69
	v_add_f32_e32 v17, v17, v41
	v_sub_f32_e32 v41, v87, v70
	v_add_f32_e32 v19, v19, v41
	v_mul_f32_e32 v41, 0x3f763a35, v64
	v_add_f32_e32 v43, v43, v44
	v_fma_f32 v44, v63, s6, -v41
	v_fmac_f32_e32 v41, 0xbe8c1d8e, v63
	v_add_f32_e32 v21, v21, v41
	v_mul_f32_e32 v41, 0x3eb8f4ab, v64
	v_add_f32_e32 v23, v23, v44
	v_fma_f32 v44, v63, s15, -v41
	v_fmac_f32_e32 v41, 0x3f6eb680, v63
	v_add_f32_e32 v25, v25, v41
	v_mul_f32_e32 v41, 0xbf65296c, v64
	v_add_f32_e32 v27, v27, v44
	v_fma_f32 v44, v63, s1, -v41
	v_fmac_f32_e32 v41, 0x3ee437d1, v63
	v_add_f32_e32 v29, v29, v41
	v_mul_f32_e32 v41, 0xbf06c442, v64
	v_add_f32_e32 v31, v31, v44
	v_fma_f32 v44, v63, s8, -v41
	v_fmac_f32_e32 v41, 0xbf59a7d5, v63
	v_add_f32_e32 v33, v33, v41
	v_mul_f32_e32 v41, 0x3f4c4adb, v64
	v_add_f32_e32 v35, v35, v44
	v_fma_f32 v44, v63, s7, -v41
	v_fmac_f32_e32 v41, 0xbf1a4643, v63
	v_add_f32_e32 v37, v37, v41
	v_mul_f32_e32 v41, 0x3f2c7751, v64
	v_mul_f32_e32 v88, 0xbe8c1d8e, v59
	v_add_f32_e32 v39, v39, v44
	v_fma_f32 v44, v63, s14, -v41
	v_fmac_f32_e32 v41, 0x3f3d2fb0, v63
	v_mul_f32_e32 v89, 0xbf59a7d5, v59
	v_add_f32_e32 v9, v9, v41
	v_sub_f32_e32 v41, v88, v65
	v_add_f32_e32 v17, v17, v41
	v_sub_f32_e32 v41, v89, v66
	v_add_f32_e32 v19, v19, v41
	v_mul_f32_e32 v41, 0x3f2c7751, v60
	v_add_f32_e32 v43, v43, v44
	v_fma_f32 v44, v59, s14, -v41
	v_fmac_f32_e32 v41, 0x3f3d2fb0, v59
	v_add_f32_e32 v21, v21, v41
	v_mul_f32_e32 v41, 0xbf65296c, v60
	v_add_f32_e32 v23, v23, v44
	v_fma_f32 v44, v59, s1, -v41
	v_fmac_f32_e32 v41, 0x3ee437d1, v59
	v_add_f32_e32 v25, v25, v41
	v_mul_f32_e32 v41, 0xbe3c28d5, v60
	;; [unrolled: 36-line block ×3, first 2 shown]
	v_add_f32_e32 v27, v27, v44
	v_fma_f32 v44, v38, s0, -v41
	v_fmac_f32_e32 v41, 0x3dbcf732, v38
	v_add_f32_e32 v29, v29, v41
	v_mul_f32_e32 v41, 0xbf2c7751, v40
	v_add_f32_e32 v31, v31, v44
	v_fma_f32 v44, v38, s14, -v41
	v_fmac_f32_e32 v41, 0x3f3d2fb0, v38
	v_add_f32_e32 v33, v33, v41
	v_mul_f32_e32 v41, 0xbe3c28d5, v40
	v_mul_f32_e32 v92, 0xbf59a7d5, v30
	v_add_f32_e32 v35, v35, v44
	v_fma_f32 v44, v38, s9, -v41
	v_fmac_f32_e32 v41, 0xbf7ba420, v38
	v_mul_f32_e32 v40, 0x3f65296c, v40
	v_mul_f32_e32 v93, 0x3ee437d1, v30
	v_add_f32_e32 v37, v37, v41
	v_fma_f32 v41, v38, s1, -v40
	v_fmac_f32_e32 v40, 0x3ee437d1, v38
	v_sub_f32_e32 v38, v92, v42
	v_add_f32_e32 v17, v17, v38
	v_sub_f32_e32 v38, v93, v58
	v_add_f32_e32 v19, v19, v38
	v_mul_f32_e32 v38, 0xbf7ee86f, v32
	v_add_f32_e32 v9, v9, v40
	v_fma_f32 v40, v30, s0, -v38
	v_fmac_f32_e32 v38, 0x3dbcf732, v30
	v_add_f32_e32 v21, v21, v38
	v_mul_f32_e32 v38, 0x3f4c4adb, v32
	v_add_f32_e32 v23, v23, v40
	v_fma_f32 v40, v30, s7, -v38
	v_fmac_f32_e32 v38, 0xbf1a4643, v30
	;; [unrolled: 5-line block ×4, first 2 shown]
	v_add_f32_e32 v33, v33, v38
	v_mul_f32_e32 v38, 0x3f2c7751, v32
	v_mul_f32_e32 v94, 0xbf7ba420, v4
	v_add_f32_e32 v35, v35, v40
	v_fma_f32 v40, v30, s14, -v38
	v_fmac_f32_e32 v38, 0x3f3d2fb0, v30
	v_mul_f32_e32 v32, 0xbf763a35, v32
	v_mul_f32_e32 v95, 0x3f6eb680, v4
	v_add_f32_e32 v37, v37, v38
	v_fma_f32 v38, v30, s6, -v32
	v_fmac_f32_e32 v32, 0xbe8c1d8e, v30
	v_sub_f32_e32 v30, v94, v34
	v_add_f32_e32 v17, v17, v30
	v_sub_f32_e32 v30, v95, v36
	v_add_f32_e32 v19, v19, v30
	v_mul_f32_e32 v30, 0xbf06c442, v13
	v_add_f32_e32 v9, v9, v32
	v_fma_f32 v32, v4, s8, -v30
	v_fmac_f32_e32 v30, 0xbf59a7d5, v4
	v_add_f32_e32 v21, v21, v30
	v_mul_f32_e32 v30, 0x3f2c7751, v13
	v_add_f32_e32 v23, v23, v32
	v_fma_f32 v32, v4, s14, -v30
	v_fmac_f32_e32 v30, 0x3f3d2fb0, v4
	;; [unrolled: 5-line block ×4, first 2 shown]
	v_add_f32_e32 v30, v33, v30
	v_mul_f32_e32 v33, 0xbf763a35, v13
	v_mul_f32_e32 v13, 0x3f7ee86f, v13
	v_add_f32_e32 v39, v39, v44
	v_add_f32_e32 v41, v43, v41
	;; [unrolled: 1-line block ×3, first 2 shown]
	v_fma_f32 v35, v4, s0, -v13
	v_fmac_f32_e32 v13, 0x3dbcf732, v4
	v_add_f32_e32 v39, v39, v40
	v_add_f32_e32 v38, v41, v38
	v_fma_f32 v34, v4, s6, -v33
	v_fmac_f32_e32 v33, 0xbe8c1d8e, v4
	v_add_f32_e32 v4, v9, v13
	v_lshl_add_u32 v9, v3, 6, v0
	v_add_f32_e32 v34, v39, v34
	v_add_f32_e32 v33, v37, v33
	;; [unrolled: 1-line block ×3, first 2 shown]
	ds_write2_b32 v9, v12, v17 offset1:1
	ds_write2_b32 v9, v19, v23 offset0:2 offset1:3
	ds_write2_b32 v9, v27, v31 offset0:4 offset1:5
	;; [unrolled: 1-line block ×7, first 2 shown]
	ds_write_b32 v9, v11 offset:64
.LBB0_15:
	s_or_b64 exec, exec, s[2:3]
	v_add_u32_e32 v4, 0x66, v3
	s_movk_i32 s0, 0xf1
	v_mul_lo_u16_sdwa v13, v3, s0 dst_sel:DWORD dst_unused:UNUSED_PAD src0_sel:BYTE_0 src1_sel:DWORD
	v_mul_lo_u16_sdwa v19, v4, s0 dst_sel:DWORD dst_unused:UNUSED_PAD src0_sel:BYTE_0 src1_sel:DWORD
	v_lshrrev_b16_e32 v23, 12, v13
	v_lshrrev_b16_e32 v80, 12, v19
	v_mul_lo_u16_e32 v13, 17, v23
	v_mul_lo_u16_e32 v19, 17, v80
	v_sub_u16_e32 v25, v3, v13
	v_mov_b32_e32 v13, 4
	v_sub_u16_e32 v81, v4, v19
	v_add_u32_e32 v45, 0xcc, v3
	v_lshlrev_b32_sdwa v17, v13, v25 dst_sel:DWORD dst_unused:UNUSED_PAD src0_sel:DWORD src1_sel:BYTE_0
	v_lshlrev_b32_sdwa v13, v13, v81 dst_sel:DWORD dst_unused:UNUSED_PAD src0_sel:DWORD src1_sel:BYTE_0
	s_mov_b32 s0, 0xf0f1
	s_load_dwordx2 s[4:5], s[4:5], 0x0
	v_add_u32_e32 v9, 0x132, v3
	s_waitcnt lgkmcnt(0)
	s_barrier
	global_load_dwordx4 v[29:32], v17, s[12:13]
	global_load_dwordx4 v[60:63], v13, s[12:13]
	v_mul_u32_u24_sdwa v13, v45, s0 dst_sel:DWORD dst_unused:UNUSED_PAD src0_sel:WORD_0 src1_sel:DWORD
	v_lshrrev_b32_e32 v82, 20, v13
	v_mul_u32_u24_sdwa v17, v9, s0 dst_sel:DWORD dst_unused:UNUSED_PAD src0_sel:WORD_0 src1_sel:DWORD
	v_mul_lo_u16_e32 v13, 17, v82
	v_lshrrev_b32_e32 v84, 20, v17
	v_sub_u16_e32 v83, v45, v13
	v_mul_lo_u16_e32 v17, 17, v84
	v_lshlrev_b32_e32 v13, 4, v83
	v_sub_u16_e32 v9, v9, v17
	v_add_u32_e32 v12, 0x198, v3
	global_load_dwordx4 v[64:67], v13, s[12:13]
	v_lshlrev_b32_e32 v13, 4, v9
	global_load_dwordx4 v[68:71], v13, s[12:13]
	v_mul_u32_u24_sdwa v13, v12, s0 dst_sel:DWORD dst_unused:UNUSED_PAD src0_sel:WORD_0 src1_sel:DWORD
	v_lshrrev_b32_e32 v85, 20, v13
	v_mul_lo_u16_e32 v13, 17, v85
	v_sub_u16_e32 v86, v12, v13
	v_lshlrev_b32_e32 v12, 4, v86
	global_load_dwordx4 v[72:75], v12, s[12:13]
	ds_read2_b32 v[12:13], v0 offset1:102
	ds_read2_b32 v[18:19], v18 offset0:152 offset1:254
	ds_read2_b32 v[33:34], v8 offset0:124 offset1:226
	;; [unrolled: 1-line block ×6, first 2 shown]
	ds_read_b32 v17, v0 offset:5712
	v_mul_u32_u24_e32 v23, 0xcc, v23
	s_waitcnt vmcnt(0) lgkmcnt(0)
	s_barrier
	v_lshlrev_b32_e32 v9, 2, v9
	v_cmp_gt_u32_e64 s[0:1], 51, v3
	v_mul_f32_e32 v43, v19, v30
	v_mul_f32_e32 v44, v33, v32
	v_fmac_f32_e32 v43, v16, v29
	v_mul_f32_e32 v30, v16, v30
	v_fmac_f32_e32 v44, v56, v31
	v_add_f32_e32 v16, v48, v43
	v_mul_f32_e32 v32, v56, v32
	v_mul_f32_e32 v41, v76, v61
	v_fma_f32 v58, v19, v29, -v30
	v_fma_f32 v59, v33, v31, -v32
	v_mul_f32_e32 v42, v34, v63
	v_fmac_f32_e32 v41, v54, v60
	v_fmac_f32_e32 v42, v57, v62
	v_mul_f32_e32 v61, v54, v61
	v_mul_f32_e32 v37, v27, v69
	;; [unrolled: 1-line block ×3, first 2 shown]
	v_fma_f32 v19, v27, v68, -v69
	v_fmac_f32_e32 v37, v50, v68
	v_mul_f32_e32 v63, v57, v63
	v_mul_f32_e32 v39, v77, v65
	;; [unrolled: 1-line block ×4, first 2 shown]
	v_fmac_f32_e32 v36, v24, v74
	v_add_f32_e32 v24, v16, v44
	v_add_f32_e32 v16, v43, v44
	v_mul_f32_e32 v35, v28, v73
	v_mul_f32_e32 v73, v51, v73
	v_fma_f32 v27, -0.5, v16, v48
	v_fma_f32 v50, v28, v72, -v73
	v_sub_f32_e32 v16, v58, v59
	v_mov_b32_e32 v28, v27
	v_fmac_f32_e32 v28, 0xbf5db3d7, v16
	v_fmac_f32_e32 v27, 0x3f5db3d7, v16
	v_add_f32_e32 v16, v49, v41
	v_add_f32_e32 v29, v16, v42
	;; [unrolled: 1-line block ×3, first 2 shown]
	v_fma_f32 v56, v76, v60, -v61
	v_fma_f32 v57, v34, v62, -v63
	v_fmac_f32_e32 v49, -0.5, v16
	v_mul_f32_e32 v40, v78, v67
	v_fmac_f32_e32 v39, v55, v64
	v_sub_f32_e32 v16, v56, v57
	v_mov_b32_e32 v30, v49
	v_fmac_f32_e32 v40, v52, v66
	v_fmac_f32_e32 v30, 0xbf5db3d7, v16
	;; [unrolled: 1-line block ×3, first 2 shown]
	v_add_f32_e32 v16, v46, v39
	v_mul_f32_e32 v65, v55, v65
	v_mul_f32_e32 v67, v52, v67
	v_add_f32_e32 v31, v16, v40
	v_add_f32_e32 v16, v39, v40
	v_fma_f32 v54, v77, v64, -v65
	v_fma_f32 v55, v78, v66, -v67
	v_fma_f32 v32, -0.5, v16, v46
	v_mul_f32_e32 v38, v79, v71
	v_sub_f32_e32 v16, v54, v55
	v_mov_b32_e32 v33, v32
	v_fmac_f32_e32 v38, v53, v70
	v_fmac_f32_e32 v33, 0xbf5db3d7, v16
	;; [unrolled: 1-line block ×3, first 2 shown]
	v_add_f32_e32 v16, v47, v37
	v_mul_f32_e32 v71, v53, v71
	v_add_f32_e32 v34, v16, v38
	v_add_f32_e32 v16, v37, v38
	v_fma_f32 v52, v79, v70, -v71
	v_fmac_f32_e32 v35, v51, v72
	v_fmac_f32_e32 v47, -0.5, v16
	v_fma_f32 v51, v17, v74, -v75
	v_sub_f32_e32 v16, v19, v52
	v_mov_b32_e32 v60, v47
	v_add_f32_e32 v17, v35, v36
	v_fmac_f32_e32 v60, 0xbf5db3d7, v16
	v_fmac_f32_e32 v47, 0x3f5db3d7, v16
	v_add_f32_e32 v16, v15, v35
	v_fmac_f32_e32 v15, -0.5, v17
	v_mov_b32_e32 v48, 2
	v_sub_f32_e32 v46, v50, v51
	v_mov_b32_e32 v17, v15
	v_lshlrev_b32_sdwa v25, v48, v25 dst_sel:DWORD dst_unused:UNUSED_PAD src0_sel:DWORD src1_sel:BYTE_0
	v_fmac_f32_e32 v17, 0xbf5db3d7, v46
	v_fmac_f32_e32 v15, 0x3f5db3d7, v46
	v_add3_u32 v46, 0, v23, v25
	ds_write2_b32 v46, v24, v28 offset1:17
	ds_write_b32 v46, v27 offset:136
	v_mul_u32_u24_e32 v23, 0xcc, v80
	v_lshlrev_b32_sdwa v24, v48, v81 dst_sel:DWORD dst_unused:UNUSED_PAD src0_sel:DWORD src1_sel:BYTE_0
	v_add3_u32 v48, 0, v23, v24
	v_mul_u32_u24_e32 v23, 0xcc, v82
	v_lshlrev_b32_e32 v24, 2, v83
	ds_write2_b32 v48, v29, v30 offset1:17
	ds_write_b32 v48, v49 offset:136
	v_add3_u32 v49, 0, v23, v24
	v_mul_u32_u24_e32 v23, 0xcc, v84
	v_add3_u32 v53, 0, v23, v9
	v_mul_u32_u24_e32 v9, 0xcc, v85
	v_lshlrev_b32_e32 v23, 2, v86
	v_add_f32_e32 v16, v16, v36
	ds_write2_b32 v49, v31, v33 offset1:17
	ds_write_b32 v49, v32 offset:136
	ds_write2_b32 v53, v34, v60 offset1:17
	ds_write_b32 v53, v47 offset:136
	v_add3_u32 v47, 0, v9, v23
	v_add_u32_e32 v60, 0x600, v0
	v_add_u32_e32 v61, 0xa00, v0
	ds_write2_b32 v47, v16, v17 offset1:17
	ds_write_b32 v47, v15 offset:136
	s_waitcnt lgkmcnt(0)
	s_barrier
	ds_read2_b32 v[23:24], v0 offset1:102
	ds_read2_b32 v[29:30], v26 offset0:127 offset1:229
	ds_read2_b32 v[31:32], v60 offset0:126 offset1:228
	;; [unrolled: 1-line block ×5, first 2 shown]
	s_and_saveexec_b64 s[2:3], s[0:1]
	s_cbranch_execz .LBB0_17
; %bb.16:
	v_add_u32_e32 v7, 0x330, v0
	ds_read2_b32 v[16:17], v7 offset1:255
	v_add_u32_e32 v7, 0xb28, v0
	ds_read2_b32 v[9:10], v7 offset1:255
	;; [unrolled: 2-line block ×3, first 2 shown]
	s_waitcnt lgkmcnt(1)
	v_mov_b32_e32 v15, v9
.LBB0_17:
	s_or_b64 exec, exec, s[2:3]
	v_add_f32_e32 v22, v58, v59
	v_add_f32_e32 v9, v12, v58
	v_fma_f32 v12, -0.5, v22, v12
	v_sub_f32_e32 v22, v43, v44
	v_mov_b32_e32 v43, v12
	v_add_f32_e32 v44, v56, v57
	v_fmac_f32_e32 v43, 0x3f5db3d7, v22
	v_fmac_f32_e32 v12, 0xbf5db3d7, v22
	v_add_f32_e32 v22, v13, v56
	v_fmac_f32_e32 v13, -0.5, v44
	v_add_f32_e32 v44, v54, v55
	v_sub_f32_e32 v41, v41, v42
	v_mov_b32_e32 v42, v13
	v_fma_f32 v44, -0.5, v44, v20
	v_fmac_f32_e32 v42, 0x3f5db3d7, v41
	v_fmac_f32_e32 v13, 0xbf5db3d7, v41
	v_add_f32_e32 v41, v20, v54
	v_sub_f32_e32 v20, v39, v40
	v_mov_b32_e32 v39, v44
	v_fmac_f32_e32 v39, 0x3f5db3d7, v20
	v_fmac_f32_e32 v44, 0xbf5db3d7, v20
	v_add_f32_e32 v20, v21, v19
	v_add_f32_e32 v19, v19, v52
	v_fmac_f32_e32 v21, -0.5, v19
	v_add_f32_e32 v40, v20, v52
	v_sub_f32_e32 v19, v37, v38
	v_mov_b32_e32 v37, v21
	v_add_f32_e32 v20, v50, v51
	v_fmac_f32_e32 v37, 0x3f5db3d7, v19
	v_fmac_f32_e32 v21, 0xbf5db3d7, v19
	v_add_f32_e32 v19, v18, v50
	v_fmac_f32_e32 v18, -0.5, v20
	v_add_f32_e32 v9, v9, v59
	v_sub_f32_e32 v35, v35, v36
	v_mov_b32_e32 v20, v18
	v_add_f32_e32 v22, v22, v57
	v_add_f32_e32 v41, v41, v55
	;; [unrolled: 1-line block ×3, first 2 shown]
	v_fmac_f32_e32 v20, 0x3f5db3d7, v35
	v_fmac_f32_e32 v18, 0xbf5db3d7, v35
	s_waitcnt lgkmcnt(0)
	s_barrier
	ds_write2_b32 v46, v9, v43 offset1:17
	ds_write_b32 v46, v12 offset:136
	ds_write2_b32 v48, v22, v42 offset1:17
	ds_write_b32 v48, v13 offset:136
	;; [unrolled: 2-line block ×5, first 2 shown]
	v_add_u32_e32 v9, 0x200, v0
	s_waitcnt lgkmcnt(0)
	s_barrier
	ds_read2_b32 v[21:22], v0 offset1:102
	ds_read2_b32 v[43:44], v9 offset0:127 offset1:229
	ds_read2_b32 v[41:42], v60 offset0:126 offset1:228
	;; [unrolled: 1-line block ×3, first 2 shown]
	v_add_u32_e32 v9, 0xe00, v0
	ds_read2_b32 v[37:38], v9 offset0:124 offset1:226
	v_add_u32_e32 v9, 0x1200, v0
	ds_read2_b32 v[39:40], v9 offset0:123 offset1:225
	s_and_saveexec_b64 s[2:3], s[0:1]
	s_cbranch_execz .LBB0_19
; %bb.18:
	v_add_u32_e32 v9, 0x330, v0
	ds_read2_b32 v[19:20], v9 offset1:255
	v_add_u32_e32 v9, 0xb28, v0
	ds_read2_b32 v[13:14], v9 offset1:255
	;; [unrolled: 2-line block ×3, first 2 shown]
	s_waitcnt lgkmcnt(1)
	v_mov_b32_e32 v18, v13
.LBB0_19:
	s_or_b64 exec, exec, s[2:3]
	v_subrev_u32_e32 v9, 51, v3
	v_cndmask_b32_e64 v79, v9, v3, s[0:1]
	v_mul_i32_i24_e32 v46, 5, v79
	v_mov_b32_e32 v47, 0
	v_lshlrev_b64 v[46:47], 3, v[46:47]
	v_mov_b32_e32 v9, s13
	v_add_co_u32_e64 v46, s[2:3], s12, v46
	v_addc_co_u32_e64 v47, s[2:3], v9, v47, s[2:3]
	s_movk_i32 s2, 0xa1
	v_mul_lo_u16_sdwa v13, v4, s2 dst_sel:DWORD dst_unused:UNUSED_PAD src0_sel:BYTE_0 src1_sel:DWORD
	v_lshrrev_b16_e32 v80, 13, v13
	v_mul_lo_u16_e32 v13, 51, v80
	v_mov_b32_e32 v9, 5
	v_sub_u16_e32 v81, v4, v13
	v_mul_u32_u24_sdwa v9, v81, v9 dst_sel:DWORD dst_unused:UNUSED_PAD src0_sel:BYTE_0 src1_sel:DWORD
	s_mov_b32 s2, 0xa0a1
	v_lshlrev_b32_e32 v9, 3, v9
	v_mul_u32_u24_sdwa v13, v45, s2 dst_sel:DWORD dst_unused:UNUSED_PAD src0_sel:WORD_0 src1_sel:DWORD
	global_load_dwordx4 v[49:52], v[46:47], off offset:272
	global_load_dwordx4 v[53:56], v[46:47], off offset:288
	global_load_dwordx2 v[73:74], v[46:47], off offset:304
	global_load_dwordx4 v[57:60], v9, s[12:13] offset:272
	global_load_dwordx2 v[75:76], v9, s[12:13] offset:304
	global_load_dwordx4 v[61:64], v9, s[12:13] offset:288
	v_lshrrev_b32_e32 v9, 21, v13
	v_mul_lo_u16_e32 v9, 51, v9
	v_sub_u16_e32 v82, v45, v9
	v_mul_u32_u24_e32 v9, 5, v82
	v_lshlrev_b32_e32 v9, 3, v9
	global_load_dwordx4 v[65:68], v9, s[12:13] offset:272
	global_load_dwordx4 v[69:72], v9, s[12:13] offset:288
	global_load_dwordx2 v[77:78], v9, s[12:13] offset:304
	v_cmp_lt_u32_e64 s[2:3], 50, v3
	s_waitcnt vmcnt(0) lgkmcnt(0)
	s_barrier
	v_mul_f32_e32 v46, v43, v50
	v_mul_f32_e32 v9, v29, v50
	;; [unrolled: 1-line block ×10, first 2 shown]
	v_fmac_f32_e32 v56, v25, v73
	v_mul_f32_e32 v25, v11, v72
	v_fmac_f32_e32 v46, v29, v49
	v_fma_f32 v43, v43, v49, -v9
	v_fmac_f32_e32 v47, v31, v51
	v_fmac_f32_e32 v52, v33, v53
	;; [unrolled: 1-line block ×3, first 2 shown]
	v_fma_f32 v49, v37, v55, -v54
	v_mul_f32_e32 v33, v38, v64
	v_mul_f32_e32 v55, v28, v64
	;; [unrolled: 1-line block ×5, first 2 shown]
	v_fmac_f32_e32 v25, v7, v71
	v_mul_f32_e32 v7, v8, v78
	v_fma_f32 v41, v41, v51, -v13
	v_fma_f32 v35, v35, v53, -v50
	v_mul_f32_e32 v53, v36, v62
	v_mul_f32_e32 v54, v34, v62
	;; [unrolled: 1-line block ×6, first 2 shown]
	v_fmac_f32_e32 v33, v28, v63
	v_fma_f32 v28, v12, v77, -v7
	v_add_f32_e32 v7, v23, v47
	v_fmac_f32_e32 v51, v10, v69
	v_fma_f32 v10, v14, v69, -v66
	v_add_f32_e32 v14, v7, v48
	v_add_f32_e32 v7, v47, v48
	v_fmac_f32_e32 v9, v15, v67
	v_fma_f32 v15, -0.5, v7, v23
	v_fmac_f32_e32 v50, v17, v65
	v_sub_f32_e32 v7, v41, v49
	v_mov_b32_e32 v17, v15
	v_mul_f32_e32 v13, v44, v58
	v_mul_f32_e32 v27, v30, v58
	v_fmac_f32_e32 v17, 0xbf5db3d7, v7
	v_fmac_f32_e32 v15, 0x3f5db3d7, v7
	v_add_f32_e32 v7, v46, v52
	v_mul_f32_e32 v29, v32, v60
	v_fmac_f32_e32 v13, v30, v57
	v_fma_f32 v30, v44, v57, -v27
	v_fma_f32 v27, v18, v67, -v64
	v_add_f32_e32 v18, v7, v56
	v_add_f32_e32 v7, v52, v56
	v_fma_f32 v37, v39, v73, -v74
	v_fma_f32 v39, v42, v59, -v29
	;; [unrolled: 1-line block ×3, first 2 shown]
	v_mul_f32_e32 v11, v12, v78
	v_fmac_f32_e32 v46, -0.5, v7
	v_fmac_f32_e32 v11, v8, v77
	v_sub_f32_e32 v8, v35, v37
	v_mov_b32_e32 v7, v46
	v_mul_f32_e32 v58, v40, v76
	v_fmac_f32_e32 v7, 0xbf5db3d7, v8
	v_fmac_f32_e32 v46, 0x3f5db3d7, v8
	v_add_f32_e32 v8, v35, v37
	v_mul_f32_e32 v31, v42, v60
	v_mul_f32_e32 v60, v26, v76
	v_fmac_f32_e32 v58, v26, v75
	v_fma_f32 v26, v20, v65, -v62
	v_fma_f32 v8, -0.5, v8, v43
	v_sub_f32_e32 v20, v52, v56
	v_mov_b32_e32 v12, v8
	v_fmac_f32_e32 v8, 0xbf5db3d7, v20
	v_fmac_f32_e32 v31, v32, v59
	v_fma_f32 v32, v36, v61, -v54
	v_fma_f32 v36, v38, v63, -v55
	v_mul_f32_e32 v38, 0xbf5db3d7, v8
	v_fmac_f32_e32 v12, 0x3f5db3d7, v20
	v_add_f32_e32 v20, v14, v18
	v_fmac_f32_e32 v38, -0.5, v46
	v_sub_f32_e32 v18, v14, v18
	v_add_f32_e32 v14, v24, v31
	v_add_f32_e32 v54, v15, v38
	v_sub_f32_e32 v55, v15, v38
	v_add_f32_e32 v38, v14, v33
	v_add_f32_e32 v14, v31, v33
	v_fmac_f32_e32 v24, -0.5, v14
	v_fmac_f32_e32 v53, v34, v61
	v_fma_f32 v34, v40, v75, -v60
	v_sub_f32_e32 v14, v39, v36
	v_mov_b32_e32 v40, v24
	v_fmac_f32_e32 v40, 0xbf5db3d7, v14
	v_fmac_f32_e32 v24, 0x3f5db3d7, v14
	v_add_f32_e32 v14, v13, v53
	v_add_f32_e32 v42, v14, v58
	;; [unrolled: 1-line block ×3, first 2 shown]
	v_fmac_f32_e32 v13, -0.5, v14
	v_sub_f32_e32 v15, v32, v34
	v_mov_b32_e32 v14, v13
	v_mul_f32_e32 v23, 0xbf5db3d7, v12
	v_fmac_f32_e32 v14, 0xbf5db3d7, v15
	v_fmac_f32_e32 v13, 0x3f5db3d7, v15
	v_add_f32_e32 v15, v32, v34
	v_fmac_f32_e32 v23, 0.5, v7
	v_fma_f32 v15, -0.5, v15, v30
	v_add_f32_e32 v52, v17, v23
	v_sub_f32_e32 v23, v17, v23
	v_sub_f32_e32 v44, v53, v58
	v_mov_b32_e32 v17, v15
	v_fmac_f32_e32 v17, 0x3f5db3d7, v44
	v_fmac_f32_e32 v15, 0xbf5db3d7, v44
	v_add_f32_e32 v56, v38, v42
	v_mul_f32_e32 v44, 0xbf5db3d7, v17
	v_sub_f32_e32 v59, v38, v42
	v_add_f32_e32 v38, v51, v11
	v_fmac_f32_e32 v44, 0.5, v14
	v_fma_f32 v38, -0.5, v38, v50
	v_add_f32_e32 v57, v40, v44
	v_sub_f32_e32 v60, v40, v44
	v_sub_f32_e32 v42, v10, v28
	v_mov_b32_e32 v40, v38
	v_mul_f32_e32 v53, 0xbf5db3d7, v15
	v_fmac_f32_e32 v40, 0xbf5db3d7, v42
	v_fmac_f32_e32 v38, 0x3f5db3d7, v42
	v_add_f32_e32 v42, v10, v28
	v_fmac_f32_e32 v53, -0.5, v13
	v_fma_f32 v42, -0.5, v42, v26
	v_add_f32_e32 v58, v24, v53
	v_sub_f32_e32 v24, v24, v53
	v_sub_f32_e32 v53, v51, v11
	v_mov_b32_e32 v44, v42
	v_fmac_f32_e32 v44, 0x3f5db3d7, v53
	v_fmac_f32_e32 v42, 0xbf5db3d7, v53
	v_mov_b32_e32 v53, 0x4c8
	v_cndmask_b32_e64 v53, 0, v53, s[2:3]
	v_lshlrev_b32_e32 v61, 2, v79
	v_add3_u32 v53, 0, v53, v61
	ds_write2_b32 v53, v20, v52 offset1:51
	ds_write2_b32 v53, v54, v18 offset0:102 offset1:153
	ds_write2_b32 v53, v23, v55 offset0:204 offset1:255
	v_mov_b32_e32 v20, 2
	v_mul_u32_u24_e32 v18, 0x4c8, v80
	v_lshlrev_b32_sdwa v20, v20, v81 dst_sel:DWORD dst_unused:UNUSED_PAD src0_sel:DWORD src1_sel:BYTE_0
	v_add3_u32 v54, 0, v18, v20
	v_lshl_add_u32 v52, v82, 2, 0
	ds_write2_b32 v54, v56, v57 offset1:51
	ds_write2_b32 v54, v58, v59 offset0:102 offset1:153
	ds_write2_b32 v54, v60, v24 offset0:204 offset1:255
	s_and_saveexec_b64 s[2:3], s[0:1]
	s_cbranch_execz .LBB0_21
; %bb.20:
	v_add_f32_e32 v18, v9, v25
	v_fma_f32 v18, -0.5, v18, v16
	v_sub_f32_e32 v20, v27, v29
	v_mov_b32_e32 v23, v18
	v_fmac_f32_e32 v23, 0x3f5db3d7, v20
	v_fmac_f32_e32 v18, 0xbf5db3d7, v20
	v_mul_f32_e32 v20, 0xbf5db3d7, v44
	v_add_f32_e32 v16, v16, v9
	v_add_f32_e32 v50, v50, v51
	v_mul_f32_e32 v24, 0xbf5db3d7, v42
	v_fmac_f32_e32 v20, 0.5, v40
	v_add_f32_e32 v16, v16, v25
	v_add_f32_e32 v11, v50, v11
	v_fmac_f32_e32 v24, -0.5, v38
	v_sub_f32_e32 v56, v18, v20
	v_sub_f32_e32 v50, v16, v11
	v_add_f32_e32 v18, v18, v20
	v_add_f32_e32 v11, v16, v11
	v_add_u32_e32 v16, 0x1000, v52
	v_sub_f32_e32 v55, v23, v24
	v_add_f32_e32 v23, v23, v24
	ds_write2_b32 v16, v11, v18 offset0:200 offset1:251
	v_add_u32_e32 v11, 0x1400, v52
	ds_write2_b32 v11, v23, v50 offset0:46 offset1:97
	ds_write2_b32 v11, v56, v55 offset0:148 offset1:199
.LBB0_21:
	s_or_b64 exec, exec, s[2:3]
	v_add_f32_e32 v16, v41, v49
	v_fma_f32 v16, -0.5, v16, v21
	v_mul_f32_e32 v12, 0.5, v12
	v_sub_f32_e32 v18, v47, v48
	v_mov_b32_e32 v20, v16
	v_fmac_f32_e32 v12, 0x3f5db3d7, v7
	v_mul_f32_e32 v7, -0.5, v8
	v_add_f32_e32 v11, v21, v41
	v_fmac_f32_e32 v20, 0x3f5db3d7, v18
	v_fmac_f32_e32 v16, 0xbf5db3d7, v18
	v_add_f32_e32 v18, v43, v35
	v_fmac_f32_e32 v7, 0x3f5db3d7, v46
	v_add_f32_e32 v8, v39, v36
	v_add_f32_e32 v11, v11, v49
	;; [unrolled: 1-line block ×4, first 2 shown]
	v_sub_f32_e32 v47, v16, v7
	v_add_f32_e32 v7, v22, v39
	v_fmac_f32_e32 v22, -0.5, v8
	v_add_f32_e32 v35, v11, v18
	v_add_f32_e32 v37, v20, v12
	v_sub_f32_e32 v43, v11, v18
	v_sub_f32_e32 v46, v20, v12
	;; [unrolled: 1-line block ×3, first 2 shown]
	v_mov_b32_e32 v11, v22
	v_mul_f32_e32 v12, 0.5, v17
	v_fmac_f32_e32 v11, 0x3f5db3d7, v8
	v_fmac_f32_e32 v22, 0xbf5db3d7, v8
	v_add_f32_e32 v8, v30, v32
	v_fmac_f32_e32 v12, 0x3f5db3d7, v14
	v_add_f32_e32 v8, v8, v34
	v_add_f32_e32 v31, v11, v12
	v_mul_f32_e32 v14, -0.5, v15
	v_sub_f32_e32 v34, v11, v12
	v_add_u32_e32 v11, 0x200, v0
	v_fmac_f32_e32 v14, 0x3f5db3d7, v13
	s_waitcnt lgkmcnt(0)
	s_barrier
	ds_read2_b32 v[15:16], v11 offset0:76 offset1:178
	v_add_u32_e32 v11, 0x800, v0
	v_add_f32_e32 v7, v7, v36
	v_add_f32_e32 v32, v22, v14
	v_sub_f32_e32 v36, v22, v14
	ds_read2_b32 v[13:14], v11 offset0:100 offset1:202
	v_add_u32_e32 v11, 0xc00, v0
	v_add_u32_e32 v17, 0x1200, v0
	v_add_u32_e32 v20, 0x400, v0
	v_add_u32_e32 v22, 0xe00, v0
	v_add_f32_e32 v30, v7, v8
	v_sub_f32_e32 v33, v7, v8
	ds_read2_b32 v[7:8], v0 offset1:102
	ds_read2_b32 v[11:12], v11 offset0:48 offset1:150
	ds_read2_b32 v[17:18], v17 offset0:72 offset1:174
	;; [unrolled: 1-line block ×4, first 2 shown]
	ds_read_b32 v24, v0 offset:5712
	s_waitcnt lgkmcnt(0)
	s_barrier
	ds_write2_b32 v53, v35, v37 offset1:51
	ds_write2_b32 v53, v41, v43 offset0:102 offset1:153
	ds_write2_b32 v53, v46, v47 offset0:204 offset1:255
	ds_write2_b32 v54, v30, v31 offset1:51
	ds_write2_b32 v54, v32, v33 offset0:102 offset1:153
	ds_write2_b32 v54, v34, v36 offset0:204 offset1:255
	s_and_saveexec_b64 s[2:3], s[0:1]
	s_cbranch_execz .LBB0_23
; %bb.22:
	v_add_f32_e32 v30, v19, v27
	v_add_f32_e32 v27, v27, v29
	v_fmac_f32_e32 v19, -0.5, v27
	v_sub_f32_e32 v9, v9, v25
	v_mov_b32_e32 v25, v19
	v_fmac_f32_e32 v25, 0x3f5db3d7, v9
	v_fmac_f32_e32 v19, 0xbf5db3d7, v9
	v_add_f32_e32 v9, v26, v10
	v_mul_f32_e32 v26, 0.5, v44
	v_add_f32_e32 v30, v30, v29
	v_add_f32_e32 v9, v9, v28
	v_fmac_f32_e32 v26, 0x3f5db3d7, v40
	v_mul_f32_e32 v28, -0.5, v42
	v_add_f32_e32 v10, v30, v9
	v_add_f32_e32 v27, v25, v26
	v_fmac_f32_e32 v28, 0x3f5db3d7, v38
	v_sub_f32_e32 v25, v25, v26
	v_add_u32_e32 v26, 0x1000, v52
	v_add_f32_e32 v29, v19, v28
	v_sub_f32_e32 v9, v30, v9
	ds_write2_b32 v26, v10, v27 offset0:200 offset1:251
	v_add_u32_e32 v10, 0x1400, v52
	v_sub_f32_e32 v19, v19, v28
	ds_write2_b32 v10, v29, v9 offset0:46 offset1:97
	ds_write2_b32 v10, v25, v19 offset0:148 offset1:199
.LBB0_23:
	s_or_b64 exec, exec, s[2:3]
	s_waitcnt lgkmcnt(0)
	s_barrier
	s_and_saveexec_b64 s[0:1], vcc
	s_cbranch_execz .LBB0_25
; %bb.24:
	v_lshlrev_b32_e32 v9, 2, v45
	v_mov_b32_e32 v10, 0
	v_lshlrev_b64 v[25:26], 3, v[9:10]
	v_mov_b32_e32 v19, s13
	v_add_co_u32_e32 v33, vcc, s12, v25
	v_addc_co_u32_e32 v34, vcc, v19, v26, vcc
	global_load_dwordx4 v[25:28], v[33:34], off offset:2312
	global_load_dwordx4 v[29:32], v[33:34], off offset:2328
	v_add_u32_e32 v9, 0xc00, v0
	v_add_u32_e32 v33, 0x400, v0
	;; [unrolled: 1-line block ×3, first 2 shown]
	ds_read_b32 v52, v0 offset:5712
	v_add_u32_e32 v37, 0x200, v0
	ds_read2_b32 v[41:42], v9 offset0:48 offset1:150
	ds_read2_b32 v[43:44], v33 offset0:152 offset1:254
	;; [unrolled: 1-line block ×4, first 2 shown]
	v_lshlrev_b32_e32 v9, 2, v4
	v_mul_lo_u32 v35, s5, v5
	v_mul_lo_u32 v36, s4, v6
	v_mad_u64_u32 v[5:6], s[0:1], s4, v5, 0
	v_lshlrev_b64 v[33:34], 3, v[9:10]
	s_movk_i32 s0, 0x1000
	v_add_co_u32_e32 v50, vcc, s12, v33
	v_addc_co_u32_e32 v51, vcc, v19, v34, vcc
	v_add3_u32 v6, v6, v36, v35
	global_load_dwordx4 v[33:36], v[50:51], off offset:2328
	global_load_dwordx4 v[37:40], v[50:51], off offset:2312
	v_lshlrev_b64 v[5:6], 3, v[5:6]
	s_waitcnt vmcnt(3)
	v_mul_f32_e32 v9, v21, v26
	s_waitcnt vmcnt(2)
	v_mul_f32_e32 v51, v24, v32
	v_mul_f32_e32 v4, v11, v28
	;; [unrolled: 1-line block ×3, first 2 shown]
	s_waitcnt lgkmcnt(3)
	v_mul_f32_e32 v28, v41, v28
	s_waitcnt lgkmcnt(1)
	v_mul_f32_e32 v30, v47, v30
	v_mul_f32_e32 v26, v44, v26
	;; [unrolled: 1-line block ×3, first 2 shown]
	v_fma_f32 v9, v44, v25, -v9
	v_fma_f32 v44, v52, v31, -v51
	v_fmac_f32_e32 v28, v11, v27
	v_fmac_f32_e32 v30, v23, v29
	;; [unrolled: 1-line block ×4, first 2 shown]
	v_add_f32_e32 v24, v9, v44
	v_fma_f32 v4, v41, v27, -v4
	v_fma_f32 v41, v47, v29, -v50
	v_sub_f32_e32 v50, v28, v26
	v_sub_f32_e32 v51, v30, v54
	s_waitcnt lgkmcnt(0)
	v_fma_f32 v32, -0.5, v24, v48
	v_sub_f32_e32 v23, v28, v30
	v_add_f32_e32 v47, v9, v48
	v_add_f32_e32 v24, v50, v51
	v_mov_b32_e32 v51, v32
	v_sub_f32_e32 v11, v4, v9
	v_sub_f32_e32 v21, v41, v44
	;; [unrolled: 1-line block ×4, first 2 shown]
	v_add_f32_e32 v31, v4, v41
	v_sub_f32_e32 v56, v4, v41
	v_add_f32_e32 v4, v4, v47
	v_fmac_f32_e32 v32, 0xbf737871, v23
	v_fmac_f32_e32 v51, 0x3f737871, v23
	v_add_f32_e32 v11, v11, v21
	v_add_f32_e32 v4, v41, v4
	v_fmac_f32_e32 v32, 0x3f167918, v25
	v_fmac_f32_e32 v51, 0xbf167918, v25
	v_add_f32_e32 v55, v44, v4
	v_fmac_f32_e32 v32, 0x3e9e377a, v11
	v_fmac_f32_e32 v51, 0x3e9e377a, v11
	v_sub_f32_e32 v4, v26, v28
	v_sub_f32_e32 v11, v54, v30
	v_add_f32_e32 v52, v26, v54
	v_add_f32_e32 v4, v4, v11
	v_add_f32_e32 v11, v28, v30
	v_fma_f32 v48, -0.5, v31, v48
	v_fma_f32 v31, -0.5, v52, v15
	;; [unrolled: 1-line block ×3, first 2 shown]
	v_sub_f32_e32 v9, v9, v44
	v_mov_b32_e32 v50, v31
	v_mov_b32_e32 v52, v47
	;; [unrolled: 1-line block ×3, first 2 shown]
	v_fmac_f32_e32 v31, 0x3f737871, v56
	v_fmac_f32_e32 v50, 0xbf737871, v56
	;; [unrolled: 1-line block ×10, first 2 shown]
	v_lshlrev_b32_e32 v9, 2, v3
	v_fmac_f32_e32 v48, 0x3f167918, v23
	v_fmac_f32_e32 v53, 0xbf167918, v23
	;; [unrolled: 1-line block ×6, first 2 shown]
	v_add_f32_e32 v4, v15, v26
	v_lshlrev_b64 v[23:24], 3, v[9:10]
	v_add_f32_e32 v4, v28, v4
	v_add_f32_e32 v4, v4, v30
	v_add_co_u32_e32 v58, vcc, s12, v23
	v_sub_f32_e32 v29, v44, v41
	v_add_f32_e32 v54, v4, v54
	v_add_u32_e32 v4, 0x800, v0
	v_addc_co_u32_e32 v59, vcc, v19, v24, vcc
	v_add_f32_e32 v21, v27, v29
	ds_read2_b32 v[56:57], v4 offset0:100 offset1:202
	global_load_dwordx4 v[23:26], v[58:59], off offset:2328
	global_load_dwordx4 v[27:30], v[58:59], off offset:2312
	v_add_u32_e32 v11, 0x1200, v0
	ds_read2_b32 v[58:59], v11 offset0:72 offset1:174
	s_waitcnt vmcnt(3)
	v_mul_f32_e32 v15, v22, v34
	s_waitcnt vmcnt(2)
	v_mul_f32_e32 v4, v14, v40
	v_mul_f32_e32 v9, v20, v38
	v_fma_f32 v41, v46, v33, -v15
	v_mul_f32_e32 v15, v18, v36
	s_waitcnt lgkmcnt(1)
	v_fma_f32 v4, v57, v39, -v4
	v_fma_f32 v9, v43, v37, -v9
	s_waitcnt lgkmcnt(0)
	v_fma_f32 v44, v59, v35, -v15
	v_sub_f32_e32 v11, v4, v9
	v_sub_f32_e32 v15, v41, v44
	v_mul_f32_e32 v40, v57, v40
	v_add_f32_e32 v11, v11, v15
	v_fmac_f32_e32 v40, v14, v39
	ds_read2_b32 v[14:15], v0 offset1:102
	v_mul_f32_e32 v38, v43, v38
	v_mul_f32_e32 v0, v46, v34
	v_fmac_f32_e32 v38, v20, v37
	v_mul_f32_e32 v37, v59, v36
	v_fmac_f32_e32 v0, v22, v33
	v_fmac_f32_e32 v37, v18, v35
	v_sub_f32_e32 v18, v40, v38
	v_sub_f32_e32 v20, v0, v37
	v_add_f32_e32 v19, v9, v44
	v_add_f32_e32 v33, v18, v20
	;; [unrolled: 1-line block ×3, first 2 shown]
	s_waitcnt lgkmcnt(0)
	v_fma_f32 v19, -0.5, v19, v15
	v_fma_f32 v18, -0.5, v18, v8
	v_fmac_f32_e32 v48, 0x3e9e377a, v21
	v_fmac_f32_e32 v53, 0x3e9e377a, v21
	v_sub_f32_e32 v22, v40, v0
	v_mov_b32_e32 v21, v19
	v_sub_f32_e32 v46, v4, v41
	v_mov_b32_e32 v20, v18
	v_fmac_f32_e32 v21, 0x3f737871, v22
	v_sub_f32_e32 v39, v38, v37
	v_sub_f32_e32 v43, v9, v44
	v_fmac_f32_e32 v20, 0xbf737871, v46
	v_fmac_f32_e32 v19, 0xbf737871, v22
	;; [unrolled: 1-line block ×11, first 2 shown]
	v_sub_f32_e32 v11, v9, v4
	v_sub_f32_e32 v33, v44, v41
	v_add_f32_e32 v9, v9, v15
	v_add_f32_e32 v11, v11, v33
	v_add_f32_e32 v33, v4, v41
	v_add_f32_e32 v4, v4, v9
	v_add_f32_e32 v4, v41, v4
	v_add_f32_e32 v9, v44, v4
	v_add_f32_e32 v4, v8, v38
	v_fma_f32 v34, -0.5, v33, v15
	v_sub_f32_e32 v33, v38, v40
	v_sub_f32_e32 v35, v37, v0
	v_add_f32_e32 v4, v40, v4
	v_mov_b32_e32 v36, v34
	v_add_f32_e32 v57, v33, v35
	v_add_f32_e32 v33, v40, v0
	;; [unrolled: 1-line block ×3, first 2 shown]
	v_fmac_f32_e32 v36, 0x3f737871, v39
	v_fma_f32 v33, -0.5, v33, v8
	v_add_f32_e32 v8, v0, v37
	v_fmac_f32_e32 v34, 0xbf737871, v39
	v_fmac_f32_e32 v36, 0x3f167918, v22
	;; [unrolled: 1-line block ×5, first 2 shown]
	v_add_co_u32_e32 v5, vcc, s10, v5
	v_mov_b32_e32 v35, v33
	v_fmac_f32_e32 v35, 0xbf737871, v43
	s_waitcnt vmcnt(1)
	v_mul_f32_e32 v15, v17, v26
	s_waitcnt vmcnt(0)
	v_mul_f32_e32 v0, v16, v28
	v_mul_f32_e32 v4, v13, v30
	v_fma_f32 v39, v58, v25, -v15
	v_mul_f32_e32 v15, v12, v24
	v_mul_f32_e32 v26, v58, v26
	v_fma_f32 v0, v49, v27, -v0
	v_fma_f32 v4, v56, v29, -v4
	;; [unrolled: 1-line block ×3, first 2 shown]
	v_fmac_f32_e32 v26, v17, v25
	v_mul_f32_e32 v25, v56, v30
	v_sub_f32_e32 v11, v0, v4
	v_sub_f32_e32 v15, v39, v40
	v_mul_f32_e32 v28, v49, v28
	v_fmac_f32_e32 v25, v13, v29
	v_mul_f32_e32 v13, v42, v24
	v_add_f32_e32 v41, v11, v15
	v_add_f32_e32 v11, v4, v40
	v_fmac_f32_e32 v28, v16, v27
	v_fmac_f32_e32 v13, v12, v23
	v_fma_f32 v38, -0.5, v11, v14
	v_sub_f32_e32 v11, v28, v25
	v_sub_f32_e32 v12, v26, v13
	v_add_f32_e32 v27, v11, v12
	v_add_f32_e32 v11, v25, v13
	v_fma_f32 v37, -0.5, v11, v7
	v_sub_f32_e32 v11, v4, v0
	v_sub_f32_e32 v12, v40, v39
	;; [unrolled: 1-line block ×3, first 2 shown]
	v_add_f32_e32 v42, v11, v12
	v_add_f32_e32 v11, v0, v39
	;; [unrolled: 1-line block ×5, first 2 shown]
	v_fma_f32 v12, -0.5, v11, v14
	v_add_f32_e32 v14, v39, v0
	v_add_f32_e32 v0, v7, v28
	;; [unrolled: 1-line block ×4, first 2 shown]
	v_sub_f32_e32 v24, v25, v13
	v_sub_f32_e32 v22, v13, v26
	v_add_f32_e32 v13, v26, v0
	v_mov_b32_e32 v0, s11
	v_addc_co_u32_e32 v6, vcc, v0, v6, vcc
	v_lshlrev_b64 v[0:1], 3, v[1:2]
	v_sub_f32_e32 v30, v4, v40
	v_mov_b32_e32 v4, v10
	v_add_co_u32_e32 v2, vcc, v5, v0
	v_addc_co_u32_e32 v5, vcc, v6, v1, vcc
	v_lshlrev_b64 v[0:1], 3, v[3:4]
	v_sub_f32_e32 v11, v25, v28
	v_add_co_u32_e32 v0, vcc, v2, v0
	v_addc_co_u32_e32 v1, vcc, v5, v1, vcc
	v_add_co_u32_e32 v2, vcc, s0, v0
	v_addc_co_u32_e32 v3, vcc, 0, v1, vcc
	s_movk_i32 s0, 0x2000
	v_fmac_f32_e32 v33, 0x3f737871, v43
	v_add_f32_e32 v43, v11, v22
	v_add_f32_e32 v11, v28, v26
	v_add_co_u32_e32 v4, vcc, s0, v0
	s_mov_b32 s0, 0xd62b80d7
	v_sub_f32_e32 v17, v28, v26
	v_mov_b32_e32 v16, v38
	v_mov_b32_e32 v15, v37
	v_fma_f32 v11, -0.5, v11, v7
	v_mul_hi_u32 v6, v45, s0
	v_fmac_f32_e32 v16, 0xbf737871, v17
	v_fmac_f32_e32 v15, 0x3f737871, v29
	v_mov_b32_e32 v23, v12
	v_mov_b32_e32 v22, v11
	v_fmac_f32_e32 v12, 0xbf737871, v24
	v_fmac_f32_e32 v11, 0x3f737871, v30
	;; [unrolled: 1-line block ×20, first 2 shown]
	v_addc_co_u32_e32 v5, vcc, 0, v1, vcc
	v_fmac_f32_e32 v35, 0x3e9e377a, v57
	v_fmac_f32_e32 v33, 0x3e9e377a, v57
	;; [unrolled: 1-line block ×6, first 2 shown]
	global_store_dwordx2 v[0:1], v[13:14], off
	global_store_dwordx2 v[0:1], v[37:38], off offset:2448
	global_store_dwordx2 v[2:3], v[11:12], off offset:800
	global_store_dwordx2 v[2:3], v[22:23], off offset:3248
	global_store_dwordx2 v[4:5], v[15:16], off offset:1600
	global_store_dwordx2 v[0:1], v[8:9], off offset:816
	global_store_dwordx2 v[0:1], v[35:36], off offset:3264
	global_store_dwordx2 v[2:3], v[18:19], off offset:1616
	global_store_dwordx2 v[2:3], v[20:21], off offset:4064
	global_store_dwordx2 v[4:5], v[33:34], off offset:2416
	v_lshrrev_b32_e32 v2, 8, v6
	v_mul_u32_u24_e32 v9, 0x4c8, v2
	v_lshlrev_b64 v[2:3], 3, v[9:10]
	v_add_co_u32_e32 v0, vcc, v0, v2
	v_addc_co_u32_e32 v1, vcc, v1, v3, vcc
	v_add_co_u32_e32 v2, vcc, 0x1000, v0
	v_addc_co_u32_e32 v3, vcc, 0, v1, vcc
	global_store_dwordx2 v[0:1], v[54:55], off offset:1632
	global_store_dwordx2 v[0:1], v[47:48], off offset:4080
	v_add_co_u32_e32 v0, vcc, 0x2000, v0
	v_addc_co_u32_e32 v1, vcc, 0, v1, vcc
	global_store_dwordx2 v[2:3], v[31:32], off offset:2432
	global_store_dwordx2 v[0:1], v[50:51], off offset:784
	;; [unrolled: 1-line block ×3, first 2 shown]
.LBB0_25:
	s_endpgm
	.section	.rodata,"a",@progbits
	.p2align	6, 0x0
	.amdhsa_kernel fft_rtc_back_len1530_factors_17_3_6_5_wgs_102_tpt_102_halfLds_sp_op_CI_CI_unitstride_sbrr_dirReg
		.amdhsa_group_segment_fixed_size 0
		.amdhsa_private_segment_fixed_size 0
		.amdhsa_kernarg_size 104
		.amdhsa_user_sgpr_count 6
		.amdhsa_user_sgpr_private_segment_buffer 1
		.amdhsa_user_sgpr_dispatch_ptr 0
		.amdhsa_user_sgpr_queue_ptr 0
		.amdhsa_user_sgpr_kernarg_segment_ptr 1
		.amdhsa_user_sgpr_dispatch_id 0
		.amdhsa_user_sgpr_flat_scratch_init 0
		.amdhsa_user_sgpr_private_segment_size 0
		.amdhsa_uses_dynamic_stack 0
		.amdhsa_system_sgpr_private_segment_wavefront_offset 0
		.amdhsa_system_sgpr_workgroup_id_x 1
		.amdhsa_system_sgpr_workgroup_id_y 0
		.amdhsa_system_sgpr_workgroup_id_z 0
		.amdhsa_system_sgpr_workgroup_info 0
		.amdhsa_system_vgpr_workitem_id 0
		.amdhsa_next_free_vgpr 96
		.amdhsa_next_free_sgpr 28
		.amdhsa_reserve_vcc 1
		.amdhsa_reserve_flat_scratch 0
		.amdhsa_float_round_mode_32 0
		.amdhsa_float_round_mode_16_64 0
		.amdhsa_float_denorm_mode_32 3
		.amdhsa_float_denorm_mode_16_64 3
		.amdhsa_dx10_clamp 1
		.amdhsa_ieee_mode 1
		.amdhsa_fp16_overflow 0
		.amdhsa_exception_fp_ieee_invalid_op 0
		.amdhsa_exception_fp_denorm_src 0
		.amdhsa_exception_fp_ieee_div_zero 0
		.amdhsa_exception_fp_ieee_overflow 0
		.amdhsa_exception_fp_ieee_underflow 0
		.amdhsa_exception_fp_ieee_inexact 0
		.amdhsa_exception_int_div_zero 0
	.end_amdhsa_kernel
	.text
.Lfunc_end0:
	.size	fft_rtc_back_len1530_factors_17_3_6_5_wgs_102_tpt_102_halfLds_sp_op_CI_CI_unitstride_sbrr_dirReg, .Lfunc_end0-fft_rtc_back_len1530_factors_17_3_6_5_wgs_102_tpt_102_halfLds_sp_op_CI_CI_unitstride_sbrr_dirReg
                                        ; -- End function
	.section	.AMDGPU.csdata,"",@progbits
; Kernel info:
; codeLenInByte = 11756
; NumSgprs: 32
; NumVgprs: 96
; ScratchSize: 0
; MemoryBound: 0
; FloatMode: 240
; IeeeMode: 1
; LDSByteSize: 0 bytes/workgroup (compile time only)
; SGPRBlocks: 3
; VGPRBlocks: 23
; NumSGPRsForWavesPerEU: 32
; NumVGPRsForWavesPerEU: 96
; Occupancy: 2
; WaveLimiterHint : 1
; COMPUTE_PGM_RSRC2:SCRATCH_EN: 0
; COMPUTE_PGM_RSRC2:USER_SGPR: 6
; COMPUTE_PGM_RSRC2:TRAP_HANDLER: 0
; COMPUTE_PGM_RSRC2:TGID_X_EN: 1
; COMPUTE_PGM_RSRC2:TGID_Y_EN: 0
; COMPUTE_PGM_RSRC2:TGID_Z_EN: 0
; COMPUTE_PGM_RSRC2:TIDIG_COMP_CNT: 0
	.type	__hip_cuid_cb5125641f9574a1,@object ; @__hip_cuid_cb5125641f9574a1
	.section	.bss,"aw",@nobits
	.globl	__hip_cuid_cb5125641f9574a1
__hip_cuid_cb5125641f9574a1:
	.byte	0                               ; 0x0
	.size	__hip_cuid_cb5125641f9574a1, 1

	.ident	"AMD clang version 19.0.0git (https://github.com/RadeonOpenCompute/llvm-project roc-6.4.0 25133 c7fe45cf4b819c5991fe208aaa96edf142730f1d)"
	.section	".note.GNU-stack","",@progbits
	.addrsig
	.addrsig_sym __hip_cuid_cb5125641f9574a1
	.amdgpu_metadata
---
amdhsa.kernels:
  - .args:
      - .actual_access:  read_only
        .address_space:  global
        .offset:         0
        .size:           8
        .value_kind:     global_buffer
      - .offset:         8
        .size:           8
        .value_kind:     by_value
      - .actual_access:  read_only
        .address_space:  global
        .offset:         16
        .size:           8
        .value_kind:     global_buffer
      - .actual_access:  read_only
        .address_space:  global
        .offset:         24
        .size:           8
        .value_kind:     global_buffer
      - .actual_access:  read_only
        .address_space:  global
        .offset:         32
        .size:           8
        .value_kind:     global_buffer
      - .offset:         40
        .size:           8
        .value_kind:     by_value
      - .actual_access:  read_only
        .address_space:  global
        .offset:         48
        .size:           8
        .value_kind:     global_buffer
      - .actual_access:  read_only
        .address_space:  global
        .offset:         56
        .size:           8
        .value_kind:     global_buffer
      - .offset:         64
        .size:           4
        .value_kind:     by_value
      - .actual_access:  read_only
        .address_space:  global
        .offset:         72
        .size:           8
        .value_kind:     global_buffer
      - .actual_access:  read_only
        .address_space:  global
        .offset:         80
        .size:           8
        .value_kind:     global_buffer
      - .actual_access:  read_only
        .address_space:  global
        .offset:         88
        .size:           8
        .value_kind:     global_buffer
      - .actual_access:  write_only
        .address_space:  global
        .offset:         96
        .size:           8
        .value_kind:     global_buffer
    .group_segment_fixed_size: 0
    .kernarg_segment_align: 8
    .kernarg_segment_size: 104
    .language:       OpenCL C
    .language_version:
      - 2
      - 0
    .max_flat_workgroup_size: 102
    .name:           fft_rtc_back_len1530_factors_17_3_6_5_wgs_102_tpt_102_halfLds_sp_op_CI_CI_unitstride_sbrr_dirReg
    .private_segment_fixed_size: 0
    .sgpr_count:     32
    .sgpr_spill_count: 0
    .symbol:         fft_rtc_back_len1530_factors_17_3_6_5_wgs_102_tpt_102_halfLds_sp_op_CI_CI_unitstride_sbrr_dirReg.kd
    .uniform_work_group_size: 1
    .uses_dynamic_stack: false
    .vgpr_count:     96
    .vgpr_spill_count: 0
    .wavefront_size: 64
amdhsa.target:   amdgcn-amd-amdhsa--gfx906
amdhsa.version:
  - 1
  - 2
...

	.end_amdgpu_metadata
